;; amdgpu-corpus repo=ROCm/rocFFT kind=compiled arch=gfx906 opt=O3
	.text
	.amdgcn_target "amdgcn-amd-amdhsa--gfx906"
	.amdhsa_code_object_version 6
	.protected	bluestein_single_back_len442_dim1_sp_op_CI_CI ; -- Begin function bluestein_single_back_len442_dim1_sp_op_CI_CI
	.globl	bluestein_single_back_len442_dim1_sp_op_CI_CI
	.p2align	8
	.type	bluestein_single_back_len442_dim1_sp_op_CI_CI,@function
bluestein_single_back_len442_dim1_sp_op_CI_CI: ; @bluestein_single_back_len442_dim1_sp_op_CI_CI
; %bb.0:
	v_mul_u32_u24_e32 v1, 0x788, v0
	s_load_dwordx4 s[0:3], s[4:5], 0x28
	v_lshrrev_b32_e32 v1, 16, v1
	v_mad_u64_u32 v[56:57], s[6:7], s6, 7, v[1:2]
	v_mov_b32_e32 v57, 0
	s_waitcnt lgkmcnt(0)
	v_cmp_gt_u64_e32 vcc, s[0:1], v[56:57]
	s_and_saveexec_b64 s[0:1], vcc
	s_cbranch_execz .LBB0_23
; %bb.1:
	s_mov_b32 s0, 0x24924925
	v_mul_hi_u32 v2, v56, s0
	s_load_dwordx2 s[12:13], s[4:5], 0x0
	s_load_dwordx2 s[14:15], s[4:5], 0x38
	v_mul_lo_u16_e32 v1, 34, v1
	v_sub_u16_e32 v85, v0, v1
	v_sub_u32_e32 v3, v56, v2
	v_lshrrev_b32_e32 v3, 1, v3
	v_add_u32_e32 v2, v3, v2
	v_lshrrev_b32_e32 v2, 2, v2
	v_mul_lo_u32 v2, v2, 7
	v_cmp_gt_u16_e64 s[0:1], 26, v85
	v_lshlrev_b32_e32 v86, 3, v85
	v_sub_u32_e32 v0, v56, v2
	v_mul_u32_u24_e32 v44, 0x1ba, v0
	v_lshlrev_b32_e32 v87, 3, v44
	s_and_saveexec_b64 s[6:7], s[0:1]
	s_cbranch_execz .LBB0_3
; %bb.2:
	s_load_dwordx2 s[8:9], s[4:5], 0x18
	v_or_b32_e32 v65, 0x1a0, v85
	s_waitcnt lgkmcnt(0)
	s_load_dwordx4 s[8:11], s[8:9], 0x0
	s_waitcnt lgkmcnt(0)
	v_mad_u64_u32 v[0:1], s[16:17], s10, v56, 0
	v_mad_u64_u32 v[2:3], s[16:17], s8, v85, 0
	;; [unrolled: 1-line block ×5, first 2 shown]
	v_mov_b32_e32 v1, v4
	v_lshlrev_b64 v[0:1], 3, v[0:1]
	v_mov_b32_e32 v3, v5
	v_mov_b32_e32 v6, s3
	v_lshlrev_b64 v[2:3], 3, v[2:3]
	v_add_co_u32_e32 v72, vcc, s2, v0
	v_addc_co_u32_e32 v73, vcc, v6, v1, vcc
	v_add_co_u32_e32 v0, vcc, v72, v2
	s_mul_i32 s2, s9, 0xd0
	s_mul_hi_u32 s3, s8, 0xd0
	v_addc_co_u32_e32 v1, vcc, v73, v3, vcc
	s_add_i32 s3, s3, s2
	s_mul_i32 s2, s8, 0xd0
	v_mov_b32_e32 v3, s3
	v_add_co_u32_e32 v2, vcc, s2, v0
	v_addc_co_u32_e32 v3, vcc, v1, v3, vcc
	v_mov_b32_e32 v5, s3
	v_add_co_u32_e32 v4, vcc, s2, v2
	v_addc_co_u32_e32 v5, vcc, v3, v5, vcc
	;; [unrolled: 3-line block ×3, first 2 shown]
	global_load_dwordx2 v[8:9], v[0:1], off
	global_load_dwordx2 v[10:11], v[2:3], off
	;; [unrolled: 1-line block ×4, first 2 shown]
	global_load_dwordx2 v[16:17], v86, s[12:13]
	global_load_dwordx2 v[18:19], v86, s[12:13] offset:208
	global_load_dwordx2 v[20:21], v86, s[12:13] offset:416
	;; [unrolled: 1-line block ×3, first 2 shown]
	v_mov_b32_e32 v1, s3
	v_add_co_u32_e32 v0, vcc, s2, v6
	v_addc_co_u32_e32 v1, vcc, v7, v1, vcc
	global_load_dwordx2 v[2:3], v[0:1], off
	v_mov_b32_e32 v4, s3
	v_add_co_u32_e32 v0, vcc, s2, v0
	v_addc_co_u32_e32 v1, vcc, v1, v4, vcc
	global_load_dwordx2 v[4:5], v[0:1], off
	;; [unrolled: 4-line block ×4, first 2 shown]
	global_load_dwordx2 v[26:27], v86, s[12:13] offset:832
	global_load_dwordx2 v[28:29], v86, s[12:13] offset:1040
	;; [unrolled: 1-line block ×4, first 2 shown]
	v_mov_b32_e32 v34, s3
	v_add_co_u32_e32 v0, vcc, s2, v0
	v_addc_co_u32_e32 v1, vcc, v1, v34, vcc
	global_load_dwordx2 v[34:35], v[0:1], off
	v_mov_b32_e32 v36, s3
	v_add_co_u32_e32 v0, vcc, s2, v0
	v_addc_co_u32_e32 v1, vcc, v1, v36, vcc
	global_load_dwordx2 v[36:37], v[0:1], off
	v_mov_b32_e32 v38, s3
	v_add_co_u32_e32 v0, vcc, s2, v0
	v_addc_co_u32_e32 v1, vcc, v1, v38, vcc
	global_load_dwordx2 v[38:39], v[0:1], off
	v_mov_b32_e32 v40, s3
	v_add_co_u32_e32 v0, vcc, s2, v0
	v_addc_co_u32_e32 v1, vcc, v1, v40, vcc
	global_load_dwordx2 v[40:41], v[0:1], off
	global_load_dwordx2 v[42:43], v86, s[12:13] offset:1664
	global_load_dwordx2 v[45:46], v86, s[12:13] offset:1872
	;; [unrolled: 1-line block ×4, first 2 shown]
	v_mov_b32_e32 v51, s3
	v_add_co_u32_e32 v0, vcc, s2, v0
	v_addc_co_u32_e32 v1, vcc, v1, v51, vcc
	global_load_dwordx2 v[51:52], v[0:1], off
	global_load_dwordx2 v[53:54], v86, s[12:13] offset:2496
	v_mov_b32_e32 v55, s3
	v_add_co_u32_e32 v0, vcc, s2, v0
	v_addc_co_u32_e32 v1, vcc, v1, v55, vcc
	global_load_dwordx2 v[57:58], v[0:1], off
	v_add_co_u32_e32 v0, vcc, s2, v0
	v_addc_co_u32_e32 v1, vcc, v1, v55, vcc
	global_load_dwordx2 v[59:60], v[0:1], off
	v_add_co_u32_e32 v0, vcc, s2, v0
	v_addc_co_u32_e32 v1, vcc, v1, v55, vcc
	v_mov_b32_e32 v55, v62
	v_mad_u64_u32 v[65:66], s[2:3], s9, v65, v[55:56]
	global_load_dwordx2 v[63:64], v86, s[12:13] offset:2704
	global_load_dwordx2 v[66:67], v[0:1], off
	global_load_dwordx2 v[68:69], v86, s[12:13] offset:2912
	global_load_dwordx2 v[70:71], v86, s[12:13] offset:3120
	v_mov_b32_e32 v62, v65
	v_lshlrev_b64 v[0:1], 3, v[61:62]
	v_lshl_add_u32 v55, v85, 3, v87
	v_add_co_u32_e32 v0, vcc, v72, v0
	v_addc_co_u32_e32 v1, vcc, v73, v1, vcc
	global_load_dwordx2 v[61:62], v[0:1], off
	global_load_dwordx2 v[72:73], v86, s[12:13] offset:3328
	s_waitcnt vmcnt(29)
	v_mul_f32_e32 v0, v9, v17
	v_mul_f32_e32 v1, v8, v17
	v_fmac_f32_e32 v0, v8, v16
	v_fma_f32 v1, v9, v16, -v1
	ds_write_b64 v55, v[0:1]
	s_waitcnt vmcnt(28)
	v_mul_f32_e32 v0, v11, v19
	v_mul_f32_e32 v1, v10, v19
	s_waitcnt vmcnt(27)
	v_mul_f32_e32 v8, v13, v21
	v_mul_f32_e32 v9, v12, v21
	v_fmac_f32_e32 v0, v10, v18
	v_add_u32_e32 v16, v87, v86
	v_fma_f32 v1, v11, v18, -v1
	v_fmac_f32_e32 v8, v12, v20
	v_fma_f32 v9, v13, v20, -v9
	ds_write2_b64 v16, v[0:1], v[8:9] offset0:26 offset1:52
	s_waitcnt vmcnt(26)
	v_mul_f32_e32 v0, v15, v23
	v_mul_f32_e32 v1, v14, v23
	v_fmac_f32_e32 v0, v14, v22
	s_waitcnt vmcnt(21)
	v_mul_f32_e32 v8, v3, v27
	v_fmac_f32_e32 v8, v2, v26
	v_mul_f32_e32 v2, v2, v27
	v_fma_f32 v1, v15, v22, -v1
	v_fma_f32 v9, v3, v26, -v2
	ds_write2_b64 v16, v[0:1], v[8:9] offset0:78 offset1:104
	s_waitcnt vmcnt(20)
	v_mul_f32_e32 v0, v5, v29
	v_mul_f32_e32 v1, v4, v29
	s_waitcnt vmcnt(19)
	v_mul_f32_e32 v2, v7, v31
	v_mul_f32_e32 v3, v6, v31
	v_fmac_f32_e32 v0, v4, v28
	v_fma_f32 v1, v5, v28, -v1
	v_fmac_f32_e32 v2, v6, v30
	v_fma_f32 v3, v7, v30, -v3
	ds_write2_b64 v16, v[0:1], v[2:3] offset0:130 offset1:156
	s_waitcnt vmcnt(18)
	v_mul_f32_e32 v0, v25, v33
	v_mul_f32_e32 v1, v24, v33
	v_fmac_f32_e32 v0, v24, v32
	v_fma_f32 v1, v25, v32, -v1
	v_add_u32_e32 v4, 0x400, v16
	s_waitcnt vmcnt(13)
	v_mul_f32_e32 v2, v35, v43
	v_mul_f32_e32 v3, v34, v43
	v_fmac_f32_e32 v2, v34, v42
	v_fma_f32 v3, v35, v42, -v3
	ds_write2_b64 v16, v[0:1], v[2:3] offset0:182 offset1:208
	s_waitcnt vmcnt(12)
	v_mul_f32_e32 v0, v37, v46
	v_mul_f32_e32 v1, v36, v46
	s_waitcnt vmcnt(11)
	v_mul_f32_e32 v2, v39, v48
	v_mul_f32_e32 v3, v38, v48
	v_fmac_f32_e32 v0, v36, v45
	v_fma_f32 v1, v37, v45, -v1
	v_fmac_f32_e32 v2, v38, v47
	v_fma_f32 v3, v39, v47, -v3
	ds_write2_b64 v4, v[0:1], v[2:3] offset0:106 offset1:132
	s_waitcnt vmcnt(10)
	v_mul_f32_e32 v0, v41, v50
	v_mul_f32_e32 v1, v40, v50
	s_waitcnt vmcnt(8)
	v_mul_f32_e32 v2, v52, v54
	v_mul_f32_e32 v3, v51, v54
	v_fmac_f32_e32 v0, v40, v49
	v_fma_f32 v1, v41, v49, -v1
	v_fmac_f32_e32 v2, v51, v53
	v_fma_f32 v3, v52, v53, -v3
	v_add_u32_e32 v4, 0x800, v16
	ds_write2_b64 v4, v[0:1], v[2:3] offset0:30 offset1:56
	s_waitcnt vmcnt(5)
	v_mul_f32_e32 v0, v58, v64
	v_mul_f32_e32 v1, v57, v64
	s_waitcnt vmcnt(3)
	v_mul_f32_e32 v2, v60, v69
	v_mul_f32_e32 v3, v59, v69
	v_fmac_f32_e32 v0, v57, v63
	v_fma_f32 v1, v58, v63, -v1
	v_fmac_f32_e32 v2, v59, v68
	v_fma_f32 v3, v60, v68, -v3
	ds_write2_b64 v4, v[0:1], v[2:3] offset0:82 offset1:108
	s_waitcnt vmcnt(2)
	v_mul_f32_e32 v0, v67, v71
	v_mul_f32_e32 v1, v66, v71
	s_waitcnt vmcnt(0)
	v_mul_f32_e32 v2, v62, v73
	v_mul_f32_e32 v3, v61, v73
	v_fmac_f32_e32 v0, v66, v70
	v_fma_f32 v1, v67, v70, -v1
	v_fmac_f32_e32 v2, v61, v72
	v_fma_f32 v3, v62, v72, -v3
	ds_write2_b64 v4, v[0:1], v[2:3] offset0:134 offset1:160
.LBB0_3:
	s_or_b64 exec, exec, s[6:7]
	v_mov_b32_e32 v4, 0
	v_mov_b32_e32 v5, 0
	s_waitcnt lgkmcnt(0)
	s_barrier
	s_waitcnt lgkmcnt(0)
                                        ; implicit-def: $vgpr10
                                        ; implicit-def: $vgpr14
                                        ; implicit-def: $vgpr30
                                        ; implicit-def: $vgpr32
                                        ; implicit-def: $vgpr40
                                        ; implicit-def: $vgpr26
                                        ; implicit-def: $vgpr22
                                        ; implicit-def: $vgpr18
	s_and_saveexec_b64 s[2:3], s[0:1]
	s_cbranch_execz .LBB0_5
; %bb.4:
	v_lshl_add_u32 v0, v44, 3, v86
	ds_read2_b64 v[4:7], v0 offset1:26
	ds_read2_b64 v[16:19], v0 offset0:52 offset1:78
	ds_read2_b64 v[20:23], v0 offset0:104 offset1:130
	;; [unrolled: 1-line block ×4, first 2 shown]
	v_add_u32_e32 v1, 0x800, v0
	ds_read2_b64 v[12:15], v1 offset0:4 offset1:30
	ds_read2_b64 v[28:31], v1 offset0:56 offset1:82
	;; [unrolled: 1-line block ×3, first 2 shown]
	ds_read_b64 v[40:41], v0 offset:3328
.LBB0_5:
	s_or_b64 exec, exec, s[2:3]
	s_waitcnt lgkmcnt(0)
	v_sub_f32_e32 v91, v7, v41
	v_mul_f32_e32 v51, 0xbeb8f4ab, v91
	v_sub_f32_e32 v99, v17, v35
	v_add_f32_e32 v45, v40, v6
	v_sub_f32_e32 v97, v6, v40
	v_mov_b32_e32 v0, v51
	v_mul_f32_e32 v59, 0xbf2c7751, v99
	v_add_f32_e32 v46, v41, v7
	s_mov_b32 s10, 0x3f6eb680
	v_mul_f32_e32 v53, 0xbeb8f4ab, v97
	v_fmac_f32_e32 v0, 0x3f6eb680, v45
	v_add_f32_e32 v47, v34, v16
	v_sub_f32_e32 v105, v16, v34
	v_mov_b32_e32 v38, v59
	v_add_f32_e32 v0, v0, v4
	v_fma_f32 v1, v46, s10, -v53
	s_mov_b32 s11, 0x3f3d2fb0
	v_mul_f32_e32 v55, 0xbf2c7751, v91
	v_add_f32_e32 v48, v35, v17
	v_mul_f32_e32 v62, 0xbf2c7751, v105
	v_fmac_f32_e32 v38, 0x3f3d2fb0, v47
	v_add_f32_e32 v1, v1, v5
	v_mov_b32_e32 v2, v55
	v_add_f32_e32 v0, v38, v0
	v_fma_f32 v38, v48, s11, -v62
	v_mul_f32_e32 v66, 0xbf7ee86f, v99
	v_mul_f32_e32 v61, 0xbf2c7751, v97
	v_fmac_f32_e32 v2, 0x3f3d2fb0, v45
	v_add_f32_e32 v1, v38, v1
	v_mov_b32_e32 v38, v66
	v_add_f32_e32 v2, v2, v4
	v_fma_f32 v3, v46, s11, -v61
	v_mul_f32_e32 v65, 0xbf65296c, v91
	s_mov_b32 s17, 0x3dbcf732
	v_mul_f32_e32 v69, 0xbf7ee86f, v105
	v_fmac_f32_e32 v38, 0x3dbcf732, v47
	v_add_f32_e32 v3, v3, v5
	v_mov_b32_e32 v36, v65
	v_add_f32_e32 v2, v38, v2
	v_fma_f32 v38, v48, s17, -v69
	v_mul_f32_e32 v74, 0xbf4c4adb, v99
	s_mov_b32 s16, 0x3ee437d1
	v_mul_f32_e32 v68, 0xbf65296c, v97
	v_fmac_f32_e32 v36, 0x3ee437d1, v45
	v_add_f32_e32 v3, v38, v3
	v_mov_b32_e32 v38, v74
	v_add_f32_e32 v36, v36, v4
	v_fma_f32 v37, v46, s16, -v68
	s_mov_b32 s20, 0xbf1a4643
	v_mul_f32_e32 v77, 0xbf4c4adb, v105
	v_fmac_f32_e32 v38, 0xbf1a4643, v47
	v_sub_f32_e32 v106, v19, v33
	v_add_f32_e32 v37, v37, v5
	v_add_f32_e32 v36, v38, v36
	v_fma_f32 v38, v48, s20, -v77
	v_mul_f32_e32 v67, 0xbf65296c, v106
	v_add_f32_e32 v37, v38, v37
	v_add_f32_e32 v49, v32, v18
	v_sub_f32_e32 v111, v18, v32
	v_mov_b32_e32 v38, v67
	v_add_f32_e32 v50, v33, v19
	v_mul_f32_e32 v70, 0xbf65296c, v111
	v_fmac_f32_e32 v38, 0x3ee437d1, v49
	v_add_f32_e32 v0, v38, v0
	v_fma_f32 v38, v50, s16, -v70
	v_mul_f32_e32 v75, 0xbf4c4adb, v106
	v_add_f32_e32 v1, v38, v1
	v_mov_b32_e32 v38, v75
	v_mul_f32_e32 v78, 0xbf4c4adb, v111
	v_fmac_f32_e32 v38, 0xbf1a4643, v49
	v_add_f32_e32 v2, v38, v2
	v_fma_f32 v38, v50, s20, -v78
	v_mul_f32_e32 v83, 0x3e3c28d5, v106
	v_add_f32_e32 v3, v38, v3
	v_mov_b32_e32 v38, v83
	s_mov_b32 s19, 0xbf7ba420
	v_mul_f32_e32 v90, 0x3e3c28d5, v111
	v_fmac_f32_e32 v38, 0xbf7ba420, v49
	v_sub_f32_e32 v112, v21, v31
	v_add_f32_e32 v36, v38, v36
	v_fma_f32 v38, v50, s19, -v90
	v_mul_f32_e32 v73, 0xbf7ee86f, v112
	v_add_f32_e32 v37, v38, v37
	v_add_f32_e32 v52, v30, v20
	v_sub_f32_e32 v115, v20, v30
	v_mov_b32_e32 v38, v73
	v_add_f32_e32 v54, v31, v21
	v_mul_f32_e32 v76, 0xbf7ee86f, v115
	v_fmac_f32_e32 v38, 0x3dbcf732, v52
	v_add_f32_e32 v0, v38, v0
	v_fma_f32 v38, v54, s17, -v76
	v_mul_f32_e32 v82, 0xbe3c28d5, v112
	v_add_f32_e32 v1, v38, v1
	v_mov_b32_e32 v38, v82
	v_mul_f32_e32 v88, 0xbe3c28d5, v115
	v_fmac_f32_e32 v38, 0xbf7ba420, v52
	v_add_f32_e32 v2, v38, v2
	v_fma_f32 v38, v54, s19, -v88
	v_mul_f32_e32 v94, 0x3f763a35, v112
	v_add_f32_e32 v3, v38, v3
	v_mov_b32_e32 v38, v94
	s_mov_b32 s18, 0xbe8c1d8e
	v_mul_f32_e32 v98, 0x3f763a35, v115
	v_fmac_f32_e32 v38, 0xbe8c1d8e, v52
	v_sub_f32_e32 v116, v23, v29
	v_add_f32_e32 v36, v38, v36
	v_fma_f32 v38, v54, s18, -v98
	v_mul_f32_e32 v81, 0xbf763a35, v116
	v_add_f32_e32 v37, v38, v37
	v_add_f32_e32 v60, v28, v22
	v_sub_f32_e32 v119, v22, v28
	v_mov_b32_e32 v38, v81
	v_add_f32_e32 v63, v29, v23
	v_mul_f32_e32 v84, 0xbf763a35, v119
	v_fmac_f32_e32 v38, 0xbe8c1d8e, v60
	v_add_f32_e32 v0, v38, v0
	v_fma_f32 v38, v63, s18, -v84
	v_mul_f32_e32 v93, 0x3f06c442, v116
	v_add_f32_e32 v1, v38, v1
	v_mov_b32_e32 v38, v93
	s_mov_b32 s21, 0xbf59a7d5
	v_mul_f32_e32 v96, 0x3f06c442, v119
	v_fmac_f32_e32 v38, 0xbf59a7d5, v60
	v_sub_f32_e32 v122, v25, v15
	v_add_f32_e32 v2, v38, v2
	v_fma_f32 v38, v63, s21, -v96
	v_mul_f32_e32 v92, 0xbf4c4adb, v122
	v_add_f32_e32 v3, v38, v3
	v_add_f32_e32 v64, v14, v24
	v_sub_f32_e32 v126, v24, v14
	v_mov_b32_e32 v38, v92
	v_add_f32_e32 v71, v15, v25
	v_mul_f32_e32 v95, 0xbf4c4adb, v126
	v_fmac_f32_e32 v38, 0xbf1a4643, v64
	v_add_f32_e32 v0, v38, v0
	v_fma_f32 v38, v71, s20, -v95
	v_mul_f32_e32 v101, 0x3f763a35, v122
	v_add_f32_e32 v1, v38, v1
	v_mov_b32_e32 v38, v101
	v_mul_f32_e32 v104, 0x3f763a35, v126
	v_fmac_f32_e32 v38, 0xbe8c1d8e, v64
	v_sub_f32_e32 v127, v27, v13
	v_add_f32_e32 v2, v38, v2
	v_fma_f32 v38, v71, s18, -v104
	v_mul_f32_e32 v100, 0xbf06c442, v127
	v_add_f32_e32 v3, v38, v3
	v_add_f32_e32 v72, v12, v26
	v_sub_f32_e32 v131, v26, v12
	v_mov_b32_e32 v38, v100
	v_add_f32_e32 v79, v13, v27
	v_mul_f32_e32 v103, 0xbf06c442, v131
	v_fmac_f32_e32 v38, 0xbf59a7d5, v72
	v_add_f32_e32 v0, v38, v0
	v_fma_f32 v38, v79, s21, -v103
	v_mul_f32_e32 v108, 0x3f65296c, v127
	v_add_f32_e32 v1, v38, v1
	v_mov_b32_e32 v38, v108
	;; [unrolled: 18-line block ×3, first 2 shown]
	v_mul_f32_e32 v102, 0x3f2c7751, v116
	v_fmac_f32_e32 v0, 0x3f6eb680, v80
	v_add_f32_e32 v0, v0, v38
	v_mov_b32_e32 v38, v102
	v_mul_f32_e32 v121, 0x3f2c7751, v119
	v_fmac_f32_e32 v38, 0x3f3d2fb0, v60
	v_add_f32_e32 v36, v38, v36
	v_fma_f32 v38, v63, s11, -v121
	v_mul_f32_e32 v117, 0xbeb8f4ab, v122
	v_add_f32_e32 v37, v38, v37
	v_mov_b32_e32 v38, v117
	v_fmac_f32_e32 v38, 0x3f6eb680, v64
	v_mul_f32_e32 v123, 0xbeb8f4ab, v126
	v_add_f32_e32 v36, v38, v36
	v_fma_f32 v38, v71, s10, -v123
	v_mul_f32_e32 v118, 0xbf7ee86f, v127
	v_add_f32_e32 v37, v38, v37
	v_mov_b32_e32 v38, v118
	v_fmac_f32_e32 v38, 0x3dbcf732, v72
	v_mul_f32_e32 v124, 0xbf7ee86f, v131
	v_add_f32_e32 v36, v38, v36
	v_fma_f32 v38, v79, s17, -v124
	v_mul_f32_e32 v120, 0xbf06c442, v134
	v_add_f32_e32 v37, v38, v37
	v_mov_b32_e32 v38, v120
	v_fmac_f32_e32 v38, 0xbf59a7d5, v80
	v_mul_f32_e32 v125, 0xbf06c442, v144
	v_add_f32_e32 v57, v38, v36
	v_fma_f32 v36, v89, s21, -v125
	v_mul_f32_e32 v128, 0xbf7ee86f, v91
	v_add_f32_e32 v58, v36, v37
	v_mov_b32_e32 v36, v128
	v_mul_f32_e32 v129, 0xbe3c28d5, v99
	v_fmac_f32_e32 v36, 0x3dbcf732, v45
	v_mov_b32_e32 v37, v129
	v_add_f32_e32 v36, v36, v4
	v_fmac_f32_e32 v37, 0xbf7ba420, v47
	v_mul_f32_e32 v135, 0xbf7ee86f, v97
	v_add_f32_e32 v36, v37, v36
	v_fma_f32 v37, v46, s17, -v135
	v_mul_f32_e32 v136, 0xbe3c28d5, v105
	v_add_f32_e32 v37, v37, v5
	v_fma_f32 v38, v48, s19, -v136
	v_mul_f32_e32 v130, 0x3f763a35, v106
	v_add_f32_e32 v37, v38, v37
	v_mov_b32_e32 v38, v130
	v_fmac_f32_e32 v38, 0xbe8c1d8e, v49
	v_mul_f32_e32 v138, 0x3f763a35, v111
	v_add_f32_e32 v36, v38, v36
	v_fma_f32 v38, v50, s18, -v138
	v_mul_f32_e32 v132, 0x3eb8f4ab, v112
	v_add_f32_e32 v37, v38, v37
	v_mov_b32_e32 v38, v132
	v_fmac_f32_e32 v38, 0x3f6eb680, v52
	;; [unrolled: 7-line block ×5, first 2 shown]
	v_mul_f32_e32 v145, 0x3f4c4adb, v131
	v_add_f32_e32 v36, v38, v36
	v_fma_f32 v38, v79, s20, -v145
	v_mul_f32_e32 v141, 0x3f2c7751, v134
	v_mul_f32_e32 v114, 0x3eb8f4ab, v144
	v_add_f32_e32 v37, v38, v37
	v_mov_b32_e32 v38, v141
	v_fma_f32 v1, v89, s10, -v114
	v_fmac_f32_e32 v38, 0x3f3d2fb0, v80
	v_mul_f32_e32 v146, 0x3f2c7751, v144
	v_mul_f32_e32 v147, 0xbf763a35, v91
	v_add_f32_e32 v1, v1, v39
	v_fma_f32 v39, v89, s11, -v146
	v_add_f32_e32 v38, v38, v36
	v_mov_b32_e32 v36, v147
	v_mul_f32_e32 v148, 0x3f06c442, v99
	v_add_f32_e32 v39, v39, v37
	v_fmac_f32_e32 v36, 0xbe8c1d8e, v45
	v_mov_b32_e32 v37, v148
	v_add_f32_e32 v36, v36, v4
	v_fmac_f32_e32 v37, 0xbf59a7d5, v47
	v_mul_f32_e32 v149, 0x3f2c7751, v106
	v_add_f32_e32 v36, v37, v36
	v_mov_b32_e32 v37, v149
	v_fmac_f32_e32 v37, 0x3f3d2fb0, v49
	v_mul_f32_e32 v150, 0xbf65296c, v112
	v_add_f32_e32 v36, v37, v36
	v_mov_b32_e32 v37, v150
	;; [unrolled: 4-line block ×6, first 2 shown]
	v_fmac_f32_e32 v37, 0xbf1a4643, v80
	v_mul_f32_e32 v161, 0xbf763a35, v97
	v_add_f32_e32 v36, v37, v36
	v_fma_f32 v37, v46, s18, -v161
	v_mul_f32_e32 v162, 0x3f06c442, v105
	v_add_f32_e32 v37, v37, v5
	v_fma_f32 v42, v48, s21, -v162
	v_mul_f32_e32 v160, 0x3f2c7751, v111
	v_add_f32_e32 v37, v42, v37
	v_fma_f32 v42, v50, s11, -v160
	v_mul_f32_e32 v159, 0xbf65296c, v115
	v_add_f32_e32 v37, v42, v37
	v_fma_f32 v42, v54, s16, -v159
	v_mul_f32_e32 v158, 0xbe3c28d5, v119
	v_add_f32_e32 v37, v42, v37
	v_fma_f32 v42, v63, s19, -v158
	v_mul_f32_e32 v157, 0x3f7ee86f, v126
	s_load_dwordx2 s[6:7], s[4:5], 0x20
	s_load_dwordx2 s[8:9], s[4:5], 0x8
	v_add_f32_e32 v37, v42, v37
	v_fma_f32 v42, v71, s17, -v157
	v_mul_f32_e32 v155, 0xbeb8f4ab, v131
	v_add_f32_e32 v37, v42, v37
	v_fma_f32 v42, v79, s10, -v155
	v_mul_f32_e32 v156, 0xbf4c4adb, v144
	v_add_f32_e32 v37, v42, v37
	v_fma_f32 v42, v89, s20, -v156
	v_add_f32_e32 v37, v42, v37
	s_waitcnt lgkmcnt(0)
	s_barrier
	s_and_saveexec_b64 s[2:3], s[0:1]
	s_cbranch_execz .LBB0_7
; %bb.6:
	v_mul_f32_e32 v165, 0xbf59a7d5, v46
	v_mov_b32_e32 v42, v165
	v_mul_f32_e32 v166, 0x3ee437d1, v48
	v_fmac_f32_e32 v42, 0x3f06c442, v97
	v_mov_b32_e32 v43, v166
	v_add_f32_e32 v42, v42, v5
	v_fmac_f32_e32 v43, 0xbf65296c, v105
	v_mul_f32_e32 v167, 0x3dbcf732, v50
	v_add_f32_e32 v42, v43, v42
	v_mov_b32_e32 v43, v167
	v_fmac_f32_e32 v43, 0x3f7ee86f, v111
	v_mul_f32_e32 v168, 0xbf1a4643, v54
	v_add_f32_e32 v42, v43, v42
	v_mov_b32_e32 v43, v168
	;; [unrolled: 4-line block ×7, first 2 shown]
	v_mul_f32_e32 v228, 0x3f65296c, v99
	v_fmac_f32_e32 v42, 0xbf59a7d5, v45
	v_mov_b32_e32 v163, v228
	v_add_f32_e32 v42, v42, v4
	v_fmac_f32_e32 v163, 0x3ee437d1, v47
	v_mul_f32_e32 v229, 0xbf7ee86f, v106
	v_add_f32_e32 v42, v163, v42
	v_mov_b32_e32 v163, v229
	v_fmac_f32_e32 v163, 0x3dbcf732, v49
	v_mul_f32_e32 v230, 0x3f4c4adb, v112
	v_add_f32_e32 v42, v163, v42
	v_mov_b32_e32 v163, v230
	;; [unrolled: 4-line block ×5, first 2 shown]
	v_fmac_f32_e32 v163, 0x3f3d2fb0, v72
	v_mul_f32_e32 v234, 0xbf763a35, v134
	v_fmac_f32_e32 v165, 0xbf06c442, v97
	v_add_f32_e32 v42, v163, v42
	v_mov_b32_e32 v163, v234
	v_add_f32_e32 v165, v165, v5
	v_fmac_f32_e32 v166, 0x3f65296c, v105
	v_fmac_f32_e32 v163, 0xbe8c1d8e, v80
	v_mul_f32_e32 v235, 0xbe3c28d5, v97
	v_add_f32_e32 v165, v166, v165
	v_fmac_f32_e32 v167, 0xbf7ee86f, v111
	v_add_f32_e32 v42, v163, v42
	v_mov_b32_e32 v163, v235
	v_mul_f32_e32 v236, 0x3eb8f4ab, v105
	v_add_f32_e32 v165, v167, v165
	v_fmac_f32_e32 v168, 0x3f4c4adb, v115
	v_fma_f32 v166, v45, s21, -v227
	v_fmac_f32_e32 v163, 0xbf7ba420, v46
	v_mov_b32_e32 v164, v236
	v_add_f32_e32 v165, v168, v165
	v_fmac_f32_e32 v223, 0xbeb8f4ab, v119
	v_add_f32_e32 v166, v166, v4
	v_fma_f32 v167, v47, s16, -v228
	v_add_f32_e32 v163, v163, v5
	v_fmac_f32_e32 v164, 0x3f6eb680, v48
	v_mul_f32_e32 v237, 0xbf06c442, v111
	v_add_f32_e32 v165, v223, v165
	v_fmac_f32_e32 v224, 0xbe3c28d5, v126
	v_add_f32_e32 v166, v167, v166
	v_fma_f32 v167, v49, s17, -v229
	v_add_f32_e32 v163, v164, v163
	v_mov_b32_e32 v164, v237
	v_add_f32_e32 v165, v224, v165
	v_fmac_f32_e32 v225, 0x3f2c7751, v131
	v_add_f32_e32 v166, v167, v166
	v_fma_f32 v167, v52, s20, -v230
	v_fmac_f32_e32 v164, 0xbf59a7d5, v50
	v_mul_f32_e32 v238, 0x3f2c7751, v115
	v_add_f32_e32 v165, v225, v165
	v_add_f32_e32 v166, v167, v166
	v_fma_f32 v167, v60, s10, -v231
	v_fmac_f32_e32 v226, 0xbf763a35, v144
	v_add_f32_e32 v163, v164, v163
	v_mov_b32_e32 v164, v238
	v_add_f32_e32 v167, v167, v166
	v_add_f32_e32 v166, v226, v165
	v_fma_f32 v165, v64, s19, -v232
	v_fmac_f32_e32 v164, 0x3f3d2fb0, v54
	v_mul_f32_e32 v239, 0xbf4c4adb, v119
	v_add_f32_e32 v165, v165, v167
	v_fma_f32 v167, v72, s11, -v233
	v_add_f32_e32 v163, v164, v163
	v_mov_b32_e32 v164, v239
	v_add_f32_e32 v165, v167, v165
	v_fma_f32 v167, v80, s18, -v234
	v_mul_f32_e32 v97, 0xbf4c4adb, v97
	v_fmac_f32_e32 v164, 0xbf1a4643, v63
	v_mul_f32_e32 v240, 0x3f65296c, v126
	v_add_f32_e32 v165, v167, v165
	v_mov_b32_e32 v167, v97
	v_mul_f32_e32 v226, 0x3f763a35, v105
	v_add_f32_e32 v163, v164, v163
	v_mov_b32_e32 v164, v240
	v_fmac_f32_e32 v167, 0xbf1a4643, v46
	v_mov_b32_e32 v105, v226
	v_mul_f32_e32 v231, 0xbeb8f4ab, v111
	v_fmac_f32_e32 v164, 0x3ee437d1, v71
	v_mul_f32_e32 v241, 0xbf763a35, v131
	v_add_f32_e32 v167, v167, v5
	v_fmac_f32_e32 v105, 0xbe8c1d8e, v48
	v_mov_b32_e32 v111, v231
	v_add_f32_e32 v163, v164, v163
	v_mov_b32_e32 v164, v241
	v_add_f32_e32 v105, v105, v167
	v_fmac_f32_e32 v111, 0x3f6eb680, v50
	v_mul_f32_e32 v115, 0xbf06c442, v115
	v_fmac_f32_e32 v164, 0xbe8c1d8e, v79
	v_mul_f32_e32 v242, 0x3f7ee86f, v144
	v_add_f32_e32 v105, v111, v105
	v_mov_b32_e32 v111, v115
	v_add_f32_e32 v163, v164, v163
	v_mov_b32_e32 v164, v242
	v_fmac_f32_e32 v111, 0xbf59a7d5, v54
	v_mul_f32_e32 v119, 0x3f7ee86f, v119
	v_fmac_f32_e32 v164, 0x3dbcf732, v89
	v_mul_f32_e32 v243, 0xbe3c28d5, v91
	v_add_f32_e32 v105, v111, v105
	v_mov_b32_e32 v111, v119
	v_add_f32_e32 v164, v164, v163
	v_fma_f32 v163, v45, s19, -v243
	v_mul_f32_e32 v244, 0x3eb8f4ab, v99
	v_fmac_f32_e32 v111, 0x3dbcf732, v63
	v_mul_f32_e32 v126, 0xbf2c7751, v126
	v_add_f32_e32 v163, v163, v4
	v_fma_f32 v245, v47, s10, -v244
	v_add_f32_e32 v105, v111, v105
	v_mov_b32_e32 v111, v126
	v_add_f32_e32 v163, v245, v163
	v_mul_f32_e32 v245, 0xbf06c442, v106
	v_fmac_f32_e32 v111, 0x3f3d2fb0, v71
	v_mul_f32_e32 v131, 0xbe3c28d5, v131
	v_fma_f32 v246, v49, s21, -v245
	v_add_f32_e32 v105, v111, v105
	v_mov_b32_e32 v111, v131
	v_add_f32_e32 v163, v246, v163
	v_mul_f32_e32 v246, 0x3f2c7751, v112
	v_fmac_f32_e32 v111, 0xbf7ba420, v79
	v_mul_f32_e32 v144, 0x3f65296c, v144
	v_fma_f32 v247, v52, s11, -v246
	v_add_f32_e32 v105, v111, v105
	v_mov_b32_e32 v111, v144
	v_mul_f32_e32 v232, 0xbf4c4adb, v91
	v_add_f32_e32 v163, v247, v163
	v_mul_f32_e32 v247, 0xbf4c4adb, v116
	v_fmac_f32_e32 v111, 0x3ee437d1, v89
	v_fma_f32 v91, v45, s20, -v232
	v_mul_f32_e32 v99, 0x3f763a35, v99
	v_fma_f32 v248, v60, s20, -v247
	v_add_f32_e32 v168, v111, v105
	v_add_f32_e32 v91, v91, v4
	v_fma_f32 v105, v47, s18, -v99
	v_mul_f32_e32 v233, 0xbeb8f4ab, v106
	v_add_f32_e32 v163, v248, v163
	v_mul_f32_e32 v248, 0x3f65296c, v122
	v_add_f32_e32 v91, v105, v91
	v_fma_f32 v105, v49, s10, -v233
	v_mul_f32_e32 v234, 0xbf06c442, v112
	v_fma_f32 v249, v64, s16, -v248
	v_add_f32_e32 v91, v105, v91
	v_fma_f32 v105, v52, s21, -v234
	v_mul_f32_e32 v116, 0x3f7ee86f, v116
	v_add_f32_e32 v163, v249, v163
	v_mul_f32_e32 v249, 0xbf763a35, v127
	v_add_f32_e32 v91, v105, v91
	v_fma_f32 v105, v60, s17, -v116
	v_mul_f32_e32 v122, 0xbf2c7751, v122
	v_fma_f32 v250, v72, s18, -v249
	v_add_f32_e32 v91, v105, v91
	v_fma_f32 v105, v64, s11, -v122
	v_mul_f32_e32 v127, 0xbe3c28d5, v127
	v_add_f32_e32 v163, v250, v163
	v_mul_f32_e32 v250, 0x3f7ee86f, v134
	v_add_f32_e32 v91, v105, v91
	v_fma_f32 v105, v72, s19, -v127
	v_mul_f32_e32 v134, 0x3f65296c, v134
	v_mul_f32_e32 v178, 0xbe8c1d8e, v46
	v_add_f32_e32 v91, v105, v91
	v_fma_f32 v105, v80, s16, -v134
	v_mul_f32_e32 v188, 0xbf59a7d5, v48
	v_add_f32_e32 v167, v105, v91
	v_add_f32_e32 v105, v161, v178
	v_mul_f32_e32 v198, 0x3f3d2fb0, v50
	v_add_f32_e32 v106, v162, v188
	v_add_f32_e32 v105, v105, v5
	;; [unrolled: 3-line block ×6, first 2 shown]
	v_add_f32_e32 v105, v106, v105
	v_add_f32_e32 v106, v155, v161
	v_mul_f32_e32 v155, 0xbf1a4643, v89
	v_mul_f32_e32 v177, 0xbe8c1d8e, v45
	v_add_f32_e32 v105, v106, v105
	v_add_f32_e32 v106, v156, v155
	v_mul_f32_e32 v187, 0xbf59a7d5, v47
	v_add_f32_e32 v106, v106, v105
	v_sub_f32_e32 v105, v177, v147
	v_mul_f32_e32 v197, 0x3f3d2fb0, v49
	v_add_f32_e32 v105, v105, v4
	v_sub_f32_e32 v147, v187, v148
	;; [unrolled: 3-line block ×8, first 2 shown]
	v_mul_f32_e32 v186, 0xbf7ba420, v48
	v_add_f32_e32 v105, v112, v105
	v_add_f32_e32 v112, v135, v176
	v_mul_f32_e32 v196, 0xbe8c1d8e, v50
	v_add_f32_e32 v112, v112, v5
	v_add_f32_e32 v135, v136, v186
	;; [unrolled: 3-line block ×7, first 2 shown]
	v_mul_f32_e32 v174, 0x3ee437d1, v46
	v_mul_f32_e32 v175, 0x3dbcf732, v45
	v_add_f32_e32 v111, v111, v112
	v_add_f32_e32 v112, v146, v157
	v_mul_f32_e32 v184, 0xbf1a4643, v48
	v_mul_f32_e32 v185, 0xbf7ba420, v47
	v_add_f32_e32 v112, v112, v111
	v_sub_f32_e32 v111, v175, v128
	v_add_f32_e32 v68, v68, v174
	v_mul_f32_e32 v194, 0xbf7ba420, v50
	v_mul_f32_e32 v195, 0xbe8c1d8e, v49
	v_add_f32_e32 v111, v111, v4
	v_sub_f32_e32 v128, v185, v129
	v_add_f32_e32 v68, v68, v5
	v_add_f32_e32 v77, v77, v184
	v_mul_f32_e32 v204, 0xbe8c1d8e, v54
	v_mul_f32_e32 v205, 0x3f6eb680, v52
	v_add_f32_e32 v111, v128, v111
	v_sub_f32_e32 v128, v195, v130
	v_add_f32_e32 v68, v77, v68
	;; [unrolled: 6-line block ×5, first 2 shown]
	v_add_f32_e32 v77, v123, v252
	v_mul_f32_e32 v173, 0x3ee437d1, v45
	v_mul_f32_e32 v158, 0xbf59a7d5, v89
	;; [unrolled: 1-line block ×3, first 2 shown]
	v_add_f32_e32 v111, v128, v111
	v_sub_f32_e32 v91, v91, v139
	v_add_f32_e32 v68, v77, v68
	v_add_f32_e32 v77, v124, v230
	v_mul_f32_e32 v183, 0xbf1a4643, v47
	v_add_f32_e32 v91, v91, v111
	v_sub_f32_e32 v111, v198, v141
	v_add_f32_e32 v68, v77, v68
	v_add_f32_e32 v77, v125, v158
	v_sub_f32_e32 v65, v173, v65
	v_mul_f32_e32 v193, 0xbf7ba420, v49
	v_add_f32_e32 v111, v111, v91
	v_add_f32_e32 v91, v77, v68
	;; [unrolled: 1-line block ×3, first 2 shown]
	v_sub_f32_e32 v68, v183, v74
	v_mul_f32_e32 v203, 0xbe8c1d8e, v52
	v_add_f32_e32 v65, v68, v65
	v_sub_f32_e32 v68, v193, v83
	v_mul_f32_e32 v213, 0x3f3d2fb0, v60
	v_fma_f32 v251, v80, s17, -v250
	v_add_f32_e32 v65, v68, v65
	v_sub_f32_e32 v68, v203, v94
	v_add_f32_e32 v163, v251, v163
	v_mul_f32_e32 v251, 0x3f6eb680, v64
	v_add_f32_e32 v65, v68, v65
	v_sub_f32_e32 v68, v213, v102
	v_mul_f32_e32 v229, 0x3dbcf732, v72
	v_add_f32_e32 v65, v68, v65
	v_sub_f32_e32 v68, v251, v117
	v_mul_f32_e32 v172, 0x3f3d2fb0, v46
	v_mul_f32_e32 v188, 0xbf59a7d5, v80
	v_add_f32_e32 v65, v68, v65
	v_sub_f32_e32 v68, v229, v118
	v_mul_f32_e32 v182, 0x3dbcf732, v48
	v_add_f32_e32 v65, v68, v65
	v_sub_f32_e32 v68, v188, v120
	v_add_f32_e32 v61, v61, v172
	v_mul_f32_e32 v192, 0xbf1a4643, v50
	v_add_f32_e32 v90, v68, v65
	v_add_f32_e32 v61, v61, v5
	;; [unrolled: 1-line block ×3, first 2 shown]
	v_mul_f32_e32 v202, 0xbf7ba420, v54
	v_add_f32_e32 v61, v65, v61
	v_add_f32_e32 v65, v78, v192
	v_mul_f32_e32 v212, 0xbf59a7d5, v63
	v_add_f32_e32 v61, v65, v61
	v_add_f32_e32 v65, v88, v202
	;; [unrolled: 3-line block ×4, first 2 shown]
	v_mul_f32_e32 v171, 0x3f3d2fb0, v45
	v_mul_f32_e32 v159, 0x3f6eb680, v89
	v_add_f32_e32 v61, v65, v61
	v_add_f32_e32 v65, v110, v228
	v_mul_f32_e32 v181, 0x3dbcf732, v47
	v_add_f32_e32 v61, v65, v61
	v_add_f32_e32 v65, v114, v159
	v_sub_f32_e32 v55, v171, v55
	v_mul_f32_e32 v191, 0xbf1a4643, v49
	v_add_f32_e32 v69, v65, v61
	v_add_f32_e32 v55, v55, v4
	v_sub_f32_e32 v61, v181, v66
	v_add_f32_e32 v6, v6, v4
	v_mul_f32_e32 v201, 0xbf7ba420, v52
	v_add_f32_e32 v55, v61, v55
	v_sub_f32_e32 v61, v191, v75
	v_add_f32_e32 v7, v7, v5
	v_add_f32_e32 v6, v16, v6
	v_mul_f32_e32 v211, 0xbf59a7d5, v60
	v_add_f32_e32 v55, v61, v55
	v_sub_f32_e32 v61, v201, v82
	v_add_f32_e32 v7, v17, v7
	;; [unrolled: 5-line block ×4, first 2 shown]
	v_add_f32_e32 v6, v22, v6
	v_mul_f32_e32 v170, 0x3f6eb680, v46
	v_mul_f32_e32 v178, 0x3f6eb680, v80
	v_add_f32_e32 v55, v61, v55
	v_sub_f32_e32 v61, v227, v108
	v_add_f32_e32 v7, v23, v7
	v_add_f32_e32 v6, v24, v6
	v_mul_f32_e32 v180, 0x3f3d2fb0, v48
	v_add_f32_e32 v55, v61, v55
	v_sub_f32_e32 v61, v178, v113
	v_add_f32_e32 v53, v53, v170
	v_add_f32_e32 v7, v25, v7
	;; [unrolled: 1-line block ×3, first 2 shown]
	v_mul_f32_e32 v190, 0x3ee437d1, v50
	v_add_f32_e32 v68, v61, v55
	v_add_f32_e32 v53, v53, v5
	;; [unrolled: 1-line block ×5, first 2 shown]
	v_fma_f32 v8, v46, s19, -v235
	v_mul_f32_e32 v200, 0x3dbcf732, v54
	v_add_f32_e32 v53, v55, v53
	v_add_f32_e32 v55, v70, v190
	;; [unrolled: 1-line block ×4, first 2 shown]
	v_fma_f32 v9, v48, s10, -v236
	v_mul_f32_e32 v210, 0xbe8c1d8e, v63
	v_add_f32_e32 v53, v55, v53
	v_add_f32_e32 v55, v76, v200
	v_add_f32_e32 v8, v9, v8
	v_fma_f32 v9, v50, s21, -v237
	v_mul_f32_e32 v220, 0xbf1a4643, v71
	v_add_f32_e32 v53, v55, v53
	v_add_f32_e32 v55, v84, v210
	v_add_f32_e32 v8, v9, v8
	;; [unrolled: 5-line block ×3, first 2 shown]
	v_fma_f32 v9, v63, s20, -v239
	v_mul_f32_e32 v169, 0x3f6eb680, v45
	v_mul_f32_e32 v160, 0xbf7ba420, v89
	v_add_f32_e32 v53, v55, v53
	v_add_f32_e32 v55, v103, v225
	v_add_f32_e32 v6, v10, v6
	v_add_f32_e32 v8, v9, v8
	v_fma_f32 v9, v71, s16, -v240
	v_fma_f32 v10, v46, s20, -v97
	v_mul_f32_e32 v179, 0x3f3d2fb0, v47
	v_add_f32_e32 v53, v55, v53
	v_add_f32_e32 v55, v109, v160
	v_sub_f32_e32 v51, v169, v51
	v_add_f32_e32 v8, v9, v8
	v_fma_f32 v9, v79, s18, -v241
	v_add_f32_e32 v5, v10, v5
	v_fma_f32 v10, v48, s18, -v226
	v_mul_f32_e32 v189, 0x3ee437d1, v49
	v_add_f32_e32 v62, v55, v53
	v_add_f32_e32 v51, v51, v4
	v_sub_f32_e32 v53, v179, v59
	v_add_f32_e32 v7, v11, v7
	v_add_f32_e32 v8, v9, v8
	v_fma_f32 v9, v89, s17, -v242
	v_fmac_f32_e32 v243, 0xbf7ba420, v45
	v_add_f32_e32 v5, v10, v5
	v_fma_f32 v10, v50, s10, -v231
	v_fmac_f32_e32 v232, 0xbf1a4643, v45
	v_mul_f32_e32 v199, 0x3dbcf732, v52
	v_add_f32_e32 v51, v53, v51
	v_sub_f32_e32 v53, v189, v67
	v_add_f32_e32 v7, v13, v7
	v_add_f32_e32 v6, v12, v6
	;; [unrolled: 1-line block ×4, first 2 shown]
	v_fmac_f32_e32 v244, 0x3f6eb680, v47
	v_add_f32_e32 v5, v10, v5
	v_fma_f32 v10, v54, s21, -v115
	v_add_f32_e32 v4, v232, v4
	v_fmac_f32_e32 v99, 0xbe8c1d8e, v47
	v_mul_f32_e32 v209, 0xbe8c1d8e, v60
	v_add_f32_e32 v51, v53, v51
	v_sub_f32_e32 v53, v199, v73
	v_add_f32_e32 v7, v15, v7
	v_add_f32_e32 v6, v14, v6
	v_add_f32_e32 v8, v244, v8
	v_fmac_f32_e32 v245, 0xbf59a7d5, v49
	v_add_f32_e32 v5, v10, v5
	v_fma_f32 v10, v63, s17, -v119
	v_add_f32_e32 v4, v99, v4
	v_fmac_f32_e32 v233, 0x3f6eb680, v49
	v_mul_f32_e32 v219, 0xbf1a4643, v64
	v_add_f32_e32 v51, v53, v51
	v_sub_f32_e32 v53, v209, v81
	v_add_f32_e32 v7, v29, v7
	v_add_f32_e32 v6, v28, v6
	v_add_f32_e32 v8, v245, v8
	;; [unrolled: 11-line block ×4, first 2 shown]
	v_fmac_f32_e32 v248, 0x3ee437d1, v64
	v_add_f32_e32 v5, v10, v5
	v_fma_f32 v10, v89, s16, -v144
	v_add_f32_e32 v4, v116, v4
	v_fmac_f32_e32 v122, 0x3f3d2fb0, v64
	v_add_f32_e32 v51, v53, v51
	v_sub_f32_e32 v53, v162, v107
	v_add_f32_e32 v7, v35, v7
	v_add_f32_e32 v6, v34, v6
	;; [unrolled: 1-line block ×3, first 2 shown]
	v_fmac_f32_e32 v249, 0xbe8c1d8e, v72
	v_add_f32_e32 v5, v10, v5
	v_add_f32_e32 v4, v122, v4
	v_fmac_f32_e32 v127, 0xbf7ba420, v72
	v_mul_lo_u16_e32 v10, 17, v85
	v_add_f32_e32 v61, v53, v51
	v_add_f32_e32 v7, v41, v7
	v_add_f32_e32 v6, v40, v6
	v_add_f32_e32 v8, v249, v8
	v_fmac_f32_e32 v250, 0x3dbcf732, v80
	v_add_f32_e32 v4, v127, v4
	v_fmac_f32_e32 v134, 0x3ee437d1, v80
	v_add_lshl_u32 v10, v44, v10, 3
	v_add_f32_e32 v8, v250, v8
	v_add_f32_e32 v4, v134, v4
	ds_write2_b64 v10, v[6:7], v[61:62] offset1:1
	ds_write2_b64 v10, v[68:69], v[90:91] offset0:2 offset1:3
	ds_write2_b64 v10, v[111:112], v[105:106] offset0:4 offset1:5
	;; [unrolled: 1-line block ×7, first 2 shown]
	ds_write_b64 v10, v[2:3] offset:128
.LBB0_7:
	s_or_b64 exec, exec, s[2:3]
	v_add_lshl_u32 v88, v44, v85, 3
	v_add_u32_e32 v24, 0x800, v88
	s_waitcnt lgkmcnt(0)
	s_barrier
	ds_read2_b64 v[12:15], v88 offset1:34
	ds_read2_b64 v[16:19], v88 offset0:221 offset1:255
	ds_read2_b64 v[8:11], v88 offset0:68 offset1:102
	;; [unrolled: 1-line block ×5, first 2 shown]
	v_cmp_gt_u16_e64 s[2:3], 17, v85
	s_and_saveexec_b64 s[4:5], s[2:3]
	s_cbranch_execz .LBB0_9
; %bb.8:
	v_add_u32_e32 v28, 0x600, v88
	ds_read2_b64 v[36:39], v28 offset0:12 offset1:233
.LBB0_9:
	s_or_b64 exec, exec, s[4:5]
	v_add_co_u32_e32 v28, vcc, 0xffffffef, v85
	v_addc_co_u32_e64 v29, s[4:5], 0, -1, vcc
	v_cndmask_b32_e64 v32, v29, 0, s[2:3]
	v_cndmask_b32_e64 v31, v28, v85, s[2:3]
	v_lshlrev_b64 v[28:29], 3, v[31:32]
	v_mov_b32_e32 v30, s9
	v_add_co_u32_e32 v28, vcc, s8, v28
	v_addc_co_u32_e32 v29, vcc, v30, v29, vcc
	v_add_u16_e32 v30, 34, v85
	s_movk_i32 s4, 0xf1
	v_add_u16_e32 v35, 0x44, v85
	v_add_u16_e32 v42, 0x66, v85
	v_mul_lo_u16_sdwa v32, v30, s4 dst_sel:DWORD dst_unused:UNUSED_PAD src0_sel:BYTE_0 src1_sel:DWORD
	v_mul_lo_u16_sdwa v40, v35, s4 dst_sel:DWORD dst_unused:UNUSED_PAD src0_sel:BYTE_0 src1_sel:DWORD
	;; [unrolled: 1-line block ×3, first 2 shown]
	v_lshrrev_b16_e32 v32, 12, v32
	v_lshrrev_b16_e32 v40, 12, v40
	v_lshrrev_b16_e32 v43, 12, v43
	v_mul_lo_u16_e32 v33, 17, v32
	v_mul_lo_u16_e32 v41, 17, v40
	;; [unrolled: 1-line block ×3, first 2 shown]
	v_sub_u16_e32 v33, v30, v33
	v_mov_b32_e32 v30, 3
	v_sub_u16_e32 v35, v35, v41
	v_sub_u16_e32 v42, v42, v45
	v_lshlrev_b32_sdwa v34, v30, v33 dst_sel:DWORD dst_unused:UNUSED_PAD src0_sel:DWORD src1_sel:BYTE_0
	v_lshlrev_b32_sdwa v41, v30, v35 dst_sel:DWORD dst_unused:UNUSED_PAD src0_sel:DWORD src1_sel:BYTE_0
	v_lshlrev_b32_sdwa v45, v30, v42 dst_sel:DWORD dst_unused:UNUSED_PAD src0_sel:DWORD src1_sel:BYTE_0
	global_load_dwordx2 v[67:68], v[28:29], off
	global_load_dwordx2 v[65:66], v34, s[8:9]
	global_load_dwordx2 v[63:64], v41, s[8:9]
	;; [unrolled: 1-line block ×3, first 2 shown]
	v_add_u16_e32 v28, 0x88, v85
	v_mul_lo_u16_sdwa v29, v28, s4 dst_sel:DWORD dst_unused:UNUSED_PAD src0_sel:BYTE_0 src1_sel:DWORD
	v_lshrrev_b16_e32 v34, 12, v29
	v_mul_lo_u16_e32 v29, 17, v34
	v_sub_u16_e32 v41, v28, v29
	v_add_u16_e32 v29, 0xaa, v85
	v_mul_lo_u16_sdwa v45, v29, s4 dst_sel:DWORD dst_unused:UNUSED_PAD src0_sel:BYTE_0 src1_sel:DWORD
	v_lshrrev_b16_e32 v45, 12, v45
	v_mul_lo_u16_e32 v46, 17, v45
	v_lshlrev_b32_sdwa v28, v30, v41 dst_sel:DWORD dst_unused:UNUSED_PAD src0_sel:DWORD src1_sel:BYTE_0
	v_sub_u16_e32 v46, v29, v46
	global_load_dwordx2 v[71:72], v28, s[8:9]
	v_lshlrev_b32_sdwa v28, v30, v46 dst_sel:DWORD dst_unused:UNUSED_PAD src0_sel:DWORD src1_sel:BYTE_0
	global_load_dwordx2 v[69:70], v28, s[8:9]
	v_add_u16_e32 v28, 0xcc, v85
	v_mul_lo_u16_sdwa v29, v28, s4 dst_sel:DWORD dst_unused:UNUSED_PAD src0_sel:BYTE_0 src1_sel:DWORD
	v_lshrrev_b16_e32 v29, 12, v29
	v_mul_lo_u16_e32 v29, 17, v29
	v_sub_u16_e32 v90, v28, v29
	v_and_b32_e32 v30, 0xff, v90
	v_lshlrev_b32_e32 v28, 3, v30
	global_load_dwordx2 v[59:60], v28, s[8:9]
	v_cmp_lt_u16_e32 vcc, 16, v85
	s_load_dwordx4 s[4:7], s[6:7], 0x0
	s_waitcnt vmcnt(0) lgkmcnt(0)
	s_barrier
	v_mul_f32_e32 v29, v16, v68
	v_mul_f32_e32 v28, v17, v68
	;; [unrolled: 1-line block ×3, first 2 shown]
	v_fmac_f32_e32 v29, v17, v67
	v_mul_f32_e32 v48, v18, v66
	v_fma_f32 v16, v16, v67, -v28
	v_fma_f32 v18, v18, v65, -v47
	v_sub_f32_e32 v16, v12, v16
	v_fma_f32 v12, v12, 2.0, -v16
	v_mul_f32_e32 v49, v21, v64
	v_mul_f32_e32 v50, v20, v64
	v_fmac_f32_e32 v48, v19, v65
	v_fma_f32 v20, v20, v63, -v49
	v_fmac_f32_e32 v50, v21, v63
	v_sub_f32_e32 v18, v14, v18
	v_sub_f32_e32 v19, v15, v48
	;; [unrolled: 1-line block ×4, first 2 shown]
	v_fma_f32 v14, v14, 2.0, -v18
	v_fma_f32 v15, v15, 2.0, -v19
	;; [unrolled: 1-line block ×4, first 2 shown]
	v_mul_f32_e32 v51, v23, v62
	v_mul_f32_e32 v52, v22, v62
	;; [unrolled: 1-line block ×5, first 2 shown]
	v_fma_f32 v28, v38, v59, -v17
	v_cndmask_b32_e64 v38, 0, 34, vcc
	v_sub_f32_e32 v17, v13, v29
	v_add_u32_e32 v31, v31, v38
	v_fma_f32 v13, v13, 2.0, -v17
	v_add_lshl_u32 v91, v44, v31, 3
	ds_write2_b64 v91, v[12:13], v[16:17] offset1:17
	v_mad_legacy_u16 v12, v32, 34, v33
	v_and_b32_e32 v12, 0xff, v12
	v_add_lshl_u32 v92, v44, v12, 3
	v_mul_u32_u24_e32 v12, 34, v40
	v_add_u32_sdwa v12, v12, v35 dst_sel:DWORD dst_unused:UNUSED_PAD src0_sel:DWORD src1_sel:BYTE_0
	v_add_lshl_u32 v93, v44, v12, 3
	ds_write2_b64 v92, v[14:15], v[18:19] offset1:17
	ds_write2_b64 v93, v[8:9], v[20:21] offset1:17
	v_mul_u32_u24_e32 v8, 34, v43
	v_mul_f32_e32 v54, v24, v72
	v_add_u32_sdwa v8, v8, v42 dst_sel:DWORD dst_unused:UNUSED_PAD src0_sel:DWORD src1_sel:BYTE_0
	v_fma_f32 v22, v22, v61, -v51
	v_fmac_f32_e32 v52, v23, v61
	v_fma_f32 v24, v24, v71, -v53
	v_fmac_f32_e32 v54, v25, v71
	v_add_lshl_u32 v94, v44, v8, 3
	v_mul_u32_u24_e32 v8, 34, v34
	v_sub_f32_e32 v22, v10, v22
	v_sub_f32_e32 v23, v11, v52
	v_sub_f32_e32 v24, v4, v24
	v_sub_f32_e32 v25, v5, v54
	v_add_u32_sdwa v8, v8, v41 dst_sel:DWORD dst_unused:UNUSED_PAD src0_sel:DWORD src1_sel:BYTE_0
	v_mul_f32_e32 v55, v27, v70
	v_mul_f32_e32 v73, v26, v70
	v_fma_f32 v10, v10, 2.0, -v22
	v_fma_f32 v11, v11, 2.0, -v23
	;; [unrolled: 1-line block ×4, first 2 shown]
	v_add_lshl_u32 v95, v44, v8, 3
	v_fma_f32 v26, v26, v69, -v55
	v_fmac_f32_e32 v73, v27, v69
	ds_write2_b64 v94, v[10:11], v[22:23] offset1:17
	ds_write2_b64 v95, v[4:5], v[24:25] offset1:17
	v_mul_u32_u24_e32 v4, 34, v45
	v_fmac_f32_e32 v47, v39, v59
	v_sub_f32_e32 v26, v6, v26
	v_sub_f32_e32 v27, v7, v73
	v_add_u32_sdwa v4, v4, v46 dst_sel:DWORD dst_unused:UNUSED_PAD src0_sel:DWORD src1_sel:BYTE_0
	v_fma_f32 v6, v6, 2.0, -v26
	v_fma_f32 v7, v7, 2.0, -v27
	v_sub_f32_e32 v28, v36, v28
	v_sub_f32_e32 v29, v37, v47
	v_add_lshl_u32 v96, v44, v4, 3
	ds_write2_b64 v96, v[6:7], v[26:27] offset1:17
	s_and_saveexec_b64 s[10:11], s[2:3]
	s_cbranch_execz .LBB0_11
; %bb.10:
	v_add_lshl_u32 v6, v44, v30, 3
	v_fma_f32 v5, v37, 2.0, -v29
	v_fma_f32 v4, v36, 2.0, -v28
	v_add_u32_e32 v6, 0x800, v6
	ds_write2_b64 v6, v[4:5], v[28:29] offset0:152 offset1:169
.LBB0_11:
	s_or_b64 exec, exec, s[10:11]
	v_mov_b32_e32 v4, s8
	s_movk_i32 s10, 0x60
	v_mov_b32_e32 v5, s9
	v_mad_u64_u32 v[30:31], s[8:9], v85, s10, v[4:5]
	s_waitcnt lgkmcnt(0)
	s_barrier
	global_load_dwordx4 v[20:23], v[30:31], off offset:136
	global_load_dwordx4 v[12:15], v[30:31], off offset:152
	;; [unrolled: 1-line block ×6, first 2 shown]
	ds_read2_b64 v[30:33], v88 offset1:34
	ds_read2_b64 v[34:37], v88 offset0:68 offset1:102
	ds_read2_b64 v[38:41], v88 offset0:136 offset1:170
	;; [unrolled: 1-line block ×3, first 2 shown]
	v_add_u32_e32 v50, 0x800, v88
	ds_read_b64 v[54:55], v88 offset:3264
	ds_read2_b64 v[46:49], v50 offset0:16 offset1:50
	ds_read2_b64 v[50:53], v50 offset0:84 offset1:118
	s_mov_b32 s8, 0x3f62ad3f
	s_mov_b32 s10, 0x3f116cb1
	;; [unrolled: 1-line block ×6, first 2 shown]
	s_waitcnt vmcnt(5) lgkmcnt(6)
	v_mul_f32_e32 v73, v33, v21
	v_mul_f32_e32 v74, v32, v21
	s_waitcnt lgkmcnt(5)
	v_mul_f32_e32 v75, v35, v23
	v_mul_f32_e32 v76, v34, v23
	s_waitcnt vmcnt(4) lgkmcnt(4)
	v_mul_f32_e32 v79, v39, v15
	s_waitcnt vmcnt(2) lgkmcnt(3)
	v_mul_f32_e32 v89, v45, v5
	v_fma_f32 v32, v32, v20, -v73
	v_mul_f32_e32 v77, v37, v13
	v_mul_f32_e32 v80, v38, v15
	;; [unrolled: 1-line block ×3, first 2 shown]
	v_fmac_f32_e32 v74, v33, v20
	v_fma_f32 v33, v34, v22, -v75
	v_fmac_f32_e32 v76, v35, v22
	v_fma_f32 v35, v38, v14, -v79
	v_fma_f32 v38, v44, v4, -v89
	v_add_f32_e32 v44, v30, v32
	v_mul_f32_e32 v78, v36, v13
	v_fma_f32 v34, v36, v12, -v77
	v_fmac_f32_e32 v97, v45, v4
	v_add_f32_e32 v45, v31, v74
	v_add_f32_e32 v44, v44, v33
	v_mul_f32_e32 v81, v41, v9
	v_fmac_f32_e32 v78, v37, v12
	v_add_f32_e32 v45, v45, v76
	v_add_f32_e32 v44, v44, v34
	v_mul_f32_e32 v82, v40, v9
	v_mul_f32_e32 v83, v43, v11
	v_fmac_f32_e32 v80, v39, v14
	v_fma_f32 v36, v40, v8, -v81
	v_add_f32_e32 v45, v45, v78
	v_add_f32_e32 v44, v44, v35
	v_mul_f32_e32 v84, v42, v11
	v_fmac_f32_e32 v82, v41, v8
	v_fma_f32 v37, v42, v10, -v83
	v_add_f32_e32 v45, v45, v80
	v_add_f32_e32 v44, v44, v36
	s_waitcnt lgkmcnt(1)
	v_mul_f32_e32 v98, v47, v7
	v_fmac_f32_e32 v84, v43, v10
	v_add_f32_e32 v45, v45, v82
	v_add_f32_e32 v44, v44, v37
	v_mul_f32_e32 v99, v46, v7
	s_waitcnt vmcnt(1)
	v_mul_f32_e32 v100, v49, v25
	v_fma_f32 v39, v46, v6, -v98
	v_add_f32_e32 v45, v45, v84
	v_add_f32_e32 v44, v44, v38
	v_mul_f32_e32 v101, v48, v25
	s_waitcnt lgkmcnt(0)
	v_mul_f32_e32 v102, v51, v27
	v_fmac_f32_e32 v99, v47, v6
	v_fma_f32 v40, v48, v24, -v100
	v_add_f32_e32 v45, v45, v97
	v_add_f32_e32 v44, v44, v39
	v_mul_f32_e32 v103, v50, v27
	s_waitcnt vmcnt(0)
	v_mul_f32_e32 v104, v53, v17
	v_mul_f32_e32 v106, v55, v19
	v_fmac_f32_e32 v101, v49, v24
	v_fma_f32 v41, v50, v26, -v102
	v_add_f32_e32 v45, v45, v99
	v_add_f32_e32 v44, v44, v40
	v_mul_f32_e32 v105, v52, v17
	v_fmac_f32_e32 v103, v51, v26
	v_fma_f32 v42, v52, v16, -v104
	v_fma_f32 v43, v54, v18, -v106
	v_add_f32_e32 v45, v45, v101
	v_add_f32_e32 v44, v44, v41
	v_mul_f32_e32 v107, v54, v19
	v_fmac_f32_e32 v105, v53, v16
	v_add_f32_e32 v46, v32, v43
	v_sub_f32_e32 v32, v32, v43
	v_add_f32_e32 v45, v45, v103
	v_add_f32_e32 v44, v44, v42
	v_fmac_f32_e32 v107, v55, v18
	v_add_f32_e32 v45, v45, v105
	v_add_f32_e32 v73, v44, v43
	v_mul_f32_e32 v44, 0xbeedf032, v32
	v_mul_f32_e32 v52, 0xbf52af12, v32
	;; [unrolled: 1-line block ×6, first 2 shown]
	v_add_f32_e32 v47, v74, v107
	v_sub_f32_e32 v48, v74, v107
	v_add_f32_e32 v74, v45, v107
	v_mov_b32_e32 v45, v44
	v_mov_b32_e32 v53, v52
	;; [unrolled: 1-line block ×6, first 2 shown]
	v_fmac_f32_e32 v45, 0x3f62ad3f, v47
	v_fma_f32 v44, v47, s8, -v44
	v_fmac_f32_e32 v53, 0x3f116cb1, v47
	v_fma_f32 v52, v47, s10, -v52
	;; [unrolled: 2-line block ×6, first 2 shown]
	v_mul_f32_e32 v49, 0xbeedf032, v48
	v_add_f32_e32 v45, v31, v45
	v_add_f32_e32 v44, v31, v44
	v_mul_f32_e32 v50, 0xbf52af12, v48
	v_add_f32_e32 v53, v31, v53
	v_add_f32_e32 v52, v31, v52
	;; [unrolled: 3-line block ×6, first 2 shown]
	v_add_f32_e32 v32, v33, v42
	v_sub_f32_e32 v33, v33, v42
	v_sub_f32_e32 v42, v76, v105
	v_fma_f32 v43, v46, s8, -v49
	v_fmac_f32_e32 v49, 0x3f62ad3f, v46
	v_fma_f32 v51, v46, s10, -v50
	v_fmac_f32_e32 v50, 0x3f116cb1, v46
	;; [unrolled: 2-line block ×6, first 2 shown]
	v_mul_f32_e32 v47, 0xbf52af12, v42
	v_add_f32_e32 v43, v30, v43
	v_add_f32_e32 v49, v30, v49
	;; [unrolled: 1-line block ×12, first 2 shown]
	v_fma_f32 v48, v32, s10, -v47
	v_add_f32_e32 v46, v76, v105
	v_add_f32_e32 v43, v48, v43
	v_mul_f32_e32 v48, 0xbf52af12, v33
	v_mov_b32_e32 v76, v48
	v_fma_f32 v48, v46, s10, -v48
	v_fmac_f32_e32 v47, 0x3f116cb1, v32
	v_add_f32_e32 v44, v48, v44
	v_mul_f32_e32 v48, 0xbf6f5d39, v42
	v_add_f32_e32 v47, v47, v49
	v_fma_f32 v49, v32, s11, -v48
	v_fmac_f32_e32 v76, 0x3f116cb1, v46
	v_add_f32_e32 v49, v49, v51
	v_mul_f32_e32 v51, 0xbf6f5d39, v33
	v_fmac_f32_e32 v48, 0xbeb58ec6, v32
	v_add_f32_e32 v45, v76, v45
	v_mov_b32_e32 v76, v51
	v_add_f32_e32 v48, v48, v50
	v_fma_f32 v50, v46, s11, -v51
	v_mul_f32_e32 v51, 0xbe750f2a, v42
	v_add_f32_e32 v50, v50, v52
	v_fma_f32 v52, v32, s17, -v51
	v_fmac_f32_e32 v76, 0xbeb58ec6, v46
	v_add_f32_e32 v52, v52, v55
	v_mul_f32_e32 v55, 0xbe750f2a, v33
	v_add_f32_e32 v53, v76, v53
	v_mov_b32_e32 v76, v55
	v_fmac_f32_e32 v51, 0xbf788fa5, v32
	v_fmac_f32_e32 v76, 0xbf788fa5, v46
	v_add_f32_e32 v51, v51, v54
	v_fma_f32 v54, v46, s17, -v55
	v_mul_f32_e32 v55, 0x3f29c268, v42
	v_add_f32_e32 v76, v76, v77
	v_add_f32_e32 v54, v54, v75
	v_fma_f32 v75, v32, s16, -v55
	v_mul_f32_e32 v77, 0x3f29c268, v33
	v_add_f32_e32 v75, v75, v81
	v_mov_b32_e32 v81, v77
	v_fmac_f32_e32 v55, 0xbf3f9e67, v32
	v_fmac_f32_e32 v81, 0xbf3f9e67, v46
	v_add_f32_e32 v55, v55, v79
	v_fma_f32 v77, v46, s16, -v77
	v_mul_f32_e32 v79, 0x3f7e222b, v42
	v_add_f32_e32 v81, v81, v89
	v_add_f32_e32 v77, v77, v83
	v_fma_f32 v83, v32, s9, -v79
	v_mul_f32_e32 v89, 0x3f7e222b, v33
	v_fmac_f32_e32 v79, 0x3df6dbef, v32
	v_mul_f32_e32 v42, 0x3eedf032, v42
	v_mul_f32_e32 v33, 0x3eedf032, v33
	v_add_f32_e32 v79, v79, v98
	v_fma_f32 v98, v32, s8, -v42
	v_fmac_f32_e32 v42, 0x3f62ad3f, v32
	v_fma_f32 v32, v46, s8, -v33
	v_add_f32_e32 v83, v83, v100
	v_mov_b32_e32 v100, v89
	v_fma_f32 v89, v46, s9, -v89
	v_add_f32_e32 v31, v32, v31
	v_add_f32_e32 v32, v34, v41
	v_sub_f32_e32 v34, v34, v41
	v_sub_f32_e32 v41, v78, v103
	v_add_f32_e32 v89, v89, v102
	v_mov_b32_e32 v102, v33
	v_add_f32_e32 v30, v42, v30
	v_mul_f32_e32 v42, 0xbf7e222b, v41
	v_fmac_f32_e32 v100, 0x3df6dbef, v46
	v_fmac_f32_e32 v102, 0x3f62ad3f, v46
	v_fma_f32 v46, v32, s9, -v42
	v_add_f32_e32 v33, v78, v103
	v_add_f32_e32 v43, v46, v43
	v_mul_f32_e32 v46, 0xbf7e222b, v34
	v_mov_b32_e32 v78, v46
	v_fma_f32 v46, v33, s9, -v46
	v_fmac_f32_e32 v42, 0x3df6dbef, v32
	v_add_f32_e32 v44, v46, v44
	v_mul_f32_e32 v46, 0xbe750f2a, v41
	v_add_f32_e32 v42, v42, v47
	v_fma_f32 v47, v32, s17, -v46
	v_fmac_f32_e32 v78, 0x3df6dbef, v33
	v_add_f32_e32 v47, v47, v49
	v_mul_f32_e32 v49, 0xbe750f2a, v34
	v_fmac_f32_e32 v46, 0xbf788fa5, v32
	v_add_f32_e32 v45, v78, v45
	v_mov_b32_e32 v78, v49
	v_add_f32_e32 v46, v46, v48
	v_fma_f32 v48, v33, s17, -v49
	v_mul_f32_e32 v49, 0x3f6f5d39, v41
	v_add_f32_e32 v48, v48, v50
	v_fma_f32 v50, v32, s11, -v49
	v_fmac_f32_e32 v78, 0xbf788fa5, v33
	v_add_f32_e32 v50, v50, v52
	v_mul_f32_e32 v52, 0x3f6f5d39, v34
	v_fmac_f32_e32 v49, 0xbeb58ec6, v32
	v_add_f32_e32 v53, v78, v53
	v_mov_b32_e32 v78, v52
	v_add_f32_e32 v49, v49, v51
	v_fma_f32 v51, v33, s11, -v52
	v_mul_f32_e32 v52, 0x3eedf032, v41
	v_add_f32_e32 v51, v51, v54
	v_fma_f32 v54, v32, s8, -v52
	v_fmac_f32_e32 v78, 0xbeb58ec6, v33
	v_add_f32_e32 v54, v54, v75
	v_mul_f32_e32 v75, 0x3eedf032, v34
	v_add_f32_e32 v76, v78, v76
	v_mov_b32_e32 v78, v75
	v_fmac_f32_e32 v52, 0x3f62ad3f, v32
	v_fmac_f32_e32 v78, 0x3f62ad3f, v33
	v_add_f32_e32 v52, v52, v55
	v_fma_f32 v55, v33, s8, -v75
	v_mul_f32_e32 v75, 0xbf52af12, v41
	v_add_f32_e32 v78, v78, v81
	v_add_f32_e32 v55, v55, v77
	v_fma_f32 v77, v32, s10, -v75
	v_mul_f32_e32 v81, 0xbf52af12, v34
	v_fmac_f32_e32 v75, 0x3f116cb1, v32
	v_mul_f32_e32 v41, 0xbf29c268, v41
	v_mul_f32_e32 v34, 0xbf29c268, v34
	v_add_f32_e32 v77, v77, v83
	v_mov_b32_e32 v83, v81
	v_add_f32_e32 v75, v75, v79
	v_fma_f32 v79, v33, s10, -v81
	v_fma_f32 v81, v32, s16, -v41
	v_fmac_f32_e32 v41, 0xbf3f9e67, v32
	v_fma_f32 v32, v33, s16, -v34
	v_add_f32_e32 v79, v79, v89
	v_mov_b32_e32 v89, v34
	v_add_f32_e32 v31, v32, v31
	v_add_f32_e32 v32, v35, v40
	v_sub_f32_e32 v34, v35, v40
	v_sub_f32_e32 v35, v80, v101
	v_mul_f32_e32 v40, 0xbf6f5d39, v35
	v_add_f32_e32 v30, v41, v30
	v_fma_f32 v41, v32, s11, -v40
	v_fmac_f32_e32 v83, 0x3f116cb1, v33
	v_fmac_f32_e32 v89, 0xbf3f9e67, v33
	v_add_f32_e32 v33, v80, v101
	v_add_f32_e32 v41, v41, v43
	v_mul_f32_e32 v43, 0xbf6f5d39, v34
	v_fmac_f32_e32 v40, 0xbeb58ec6, v32
	v_mov_b32_e32 v80, v43
	v_add_f32_e32 v40, v40, v42
	v_fma_f32 v42, v33, s11, -v43
	v_mul_f32_e32 v43, 0x3f29c268, v35
	v_add_f32_e32 v42, v42, v44
	v_fma_f32 v44, v32, s16, -v43
	v_fmac_f32_e32 v80, 0xbeb58ec6, v33
	v_add_f32_e32 v44, v44, v47
	v_mul_f32_e32 v47, 0x3f29c268, v34
	v_fmac_f32_e32 v43, 0xbf3f9e67, v32
	v_add_f32_e32 v45, v80, v45
	v_mov_b32_e32 v80, v47
	v_add_f32_e32 v43, v43, v46
	v_fma_f32 v46, v33, s16, -v47
	v_mul_f32_e32 v47, 0x3eedf032, v35
	v_add_f32_e32 v46, v46, v48
	v_fma_f32 v48, v32, s8, -v47
	v_fmac_f32_e32 v80, 0xbf3f9e67, v33
	v_add_f32_e32 v48, v48, v50
	v_mul_f32_e32 v50, 0x3eedf032, v34
	v_fmac_f32_e32 v47, 0x3f62ad3f, v32
	v_add_f32_e32 v53, v80, v53
	;; [unrolled: 11-line block ×3, first 2 shown]
	v_mov_b32_e32 v80, v54
	v_add_f32_e32 v50, v50, v52
	v_fma_f32 v52, v33, s9, -v54
	v_mul_f32_e32 v54, 0x3e750f2a, v35
	v_add_f32_e32 v52, v52, v55
	v_fma_f32 v55, v32, s17, -v54
	v_fmac_f32_e32 v80, 0x3df6dbef, v33
	v_add_f32_e32 v55, v55, v77
	v_mul_f32_e32 v77, 0x3e750f2a, v34
	v_fmac_f32_e32 v54, 0xbf788fa5, v32
	v_mul_f32_e32 v35, 0x3f52af12, v35
	v_add_f32_e32 v78, v80, v78
	v_mov_b32_e32 v80, v77
	v_add_f32_e32 v54, v54, v75
	v_fma_f32 v75, v33, s17, -v77
	v_fma_f32 v77, v32, s10, -v35
	v_mul_f32_e32 v34, 0x3f52af12, v34
	v_fmac_f32_e32 v35, 0x3f116cb1, v32
	v_add_f32_e32 v30, v35, v30
	v_fma_f32 v32, v33, s10, -v34
	v_sub_f32_e32 v35, v82, v99
	v_add_f32_e32 v75, v75, v79
	v_mov_b32_e32 v79, v34
	v_add_f32_e32 v31, v32, v31
	v_add_f32_e32 v32, v36, v39
	v_sub_f32_e32 v34, v36, v39
	v_mul_f32_e32 v36, 0xbf29c268, v35
	v_add_f32_e32 v98, v98, v106
	v_fma_f32 v39, v32, s16, -v36
	v_add_f32_e32 v81, v81, v98
	v_fmac_f32_e32 v80, 0xbf788fa5, v33
	v_fmac_f32_e32 v79, 0x3f116cb1, v33
	v_add_f32_e32 v33, v82, v99
	v_add_f32_e32 v39, v39, v41
	v_mul_f32_e32 v41, 0xbf29c268, v34
	v_fmac_f32_e32 v36, 0xbf3f9e67, v32
	v_add_f32_e32 v77, v77, v81
	v_mov_b32_e32 v81, v41
	v_add_f32_e32 v36, v36, v40
	v_fma_f32 v40, v33, s16, -v41
	v_mul_f32_e32 v41, 0x3f7e222b, v35
	v_add_f32_e32 v40, v40, v42
	v_fma_f32 v42, v32, s9, -v41
	v_fmac_f32_e32 v81, 0xbf3f9e67, v33
	v_add_f32_e32 v44, v42, v44
	v_mul_f32_e32 v42, 0x3f7e222b, v34
	v_add_f32_e32 v45, v81, v45
	v_mov_b32_e32 v81, v42
	v_fma_f32 v42, v33, s9, -v42
	v_fmac_f32_e32 v41, 0x3df6dbef, v32
	v_add_f32_e32 v46, v42, v46
	v_mul_f32_e32 v42, 0xbf52af12, v35
	v_add_f32_e32 v41, v41, v43
	v_fma_f32 v43, v32, s10, -v42
	v_add_f32_e32 v48, v43, v48
	v_mul_f32_e32 v43, 0xbf52af12, v34
	v_fmac_f32_e32 v42, 0x3f116cb1, v32
	v_add_f32_e32 v47, v42, v47
	v_fma_f32 v42, v33, s10, -v43
	v_fmac_f32_e32 v81, 0x3df6dbef, v33
	v_add_f32_e32 v49, v42, v49
	v_mul_f32_e32 v42, 0x3e750f2a, v35
	v_add_f32_e32 v53, v81, v53
	v_mov_b32_e32 v81, v43
	v_fma_f32 v43, v32, s17, -v42
	v_fmac_f32_e32 v81, 0x3f116cb1, v33
	v_add_f32_e32 v51, v43, v51
	v_mul_f32_e32 v43, 0x3e750f2a, v34
	v_add_f32_e32 v76, v81, v76
	v_mov_b32_e32 v81, v43
	v_fmac_f32_e32 v42, 0xbf788fa5, v32
	v_fmac_f32_e32 v81, 0xbf788fa5, v33
	v_add_f32_e32 v50, v42, v50
	v_fma_f32 v42, v33, s17, -v43
	v_add_f32_e32 v78, v81, v78
	v_add_f32_e32 v81, v42, v52
	v_mul_f32_e32 v42, 0x3eedf032, v35
	v_add_f32_e32 v100, v100, v104
	v_fma_f32 v43, v32, s8, -v42
	v_add_f32_e32 v83, v83, v100
	v_add_f32_e32 v82, v43, v55
	v_mul_f32_e32 v43, 0x3eedf032, v34
	v_fmac_f32_e32 v42, 0x3f62ad3f, v32
	v_add_f32_e32 v102, v102, v107
	v_add_f32_e32 v80, v80, v83
	;; [unrolled: 1-line block ×3, first 2 shown]
	v_fma_f32 v42, v33, s8, -v43
	v_mul_f32_e32 v35, 0xbf6f5d39, v35
	v_add_f32_e32 v89, v89, v102
	v_add_f32_e32 v75, v42, v75
	v_fma_f32 v42, v32, s11, -v35
	v_mul_f32_e32 v34, 0xbf6f5d39, v34
	v_add_f32_e32 v98, v84, v97
	v_sub_f32_e32 v84, v84, v97
	v_add_f32_e32 v79, v79, v89
	v_add_f32_e32 v77, v42, v77
	v_mov_b32_e32 v42, v34
	v_fmac_f32_e32 v35, 0xbeb58ec6, v32
	v_fma_f32 v32, v33, s11, -v34
	v_add_f32_e32 v89, v37, v38
	v_sub_f32_e32 v99, v37, v38
	v_mul_f32_e32 v34, 0xbe750f2a, v84
	v_fmac_f32_e32 v42, 0xbeb58ec6, v33
	v_add_f32_e32 v30, v35, v30
	v_add_f32_e32 v31, v32, v31
	v_fma_f32 v32, v89, s17, -v34
	v_mul_f32_e32 v35, 0xbe750f2a, v99
	v_fmac_f32_e32 v34, 0xbf788fa5, v89
	v_add_f32_e32 v79, v42, v79
	v_add_f32_e32 v42, v34, v36
	v_fma_f32 v34, v98, s17, -v35
	v_mul_f32_e32 v36, 0x3eedf032, v84
	v_mov_b32_e32 v52, v43
	v_add_f32_e32 v43, v34, v40
	v_fma_f32 v34, v89, s8, -v36
	v_mul_f32_e32 v37, 0x3eedf032, v99
	v_fmac_f32_e32 v36, 0x3f62ad3f, v89
	v_add_f32_e32 v40, v36, v41
	v_fma_f32 v36, v98, s8, -v37
	v_mul_f32_e32 v38, 0xbf29c268, v84
	v_fmac_f32_e32 v52, 0x3f62ad3f, v33
	v_add_f32_e32 v32, v32, v39
	v_mov_b32_e32 v33, v35
	v_add_f32_e32 v41, v36, v46
	v_fma_f32 v36, v89, s16, -v38
	v_mul_f32_e32 v39, 0xbf29c268, v99
	v_fmac_f32_e32 v38, 0xbf3f9e67, v89
	v_fmac_f32_e32 v33, 0xbf788fa5, v98
	v_add_f32_e32 v34, v34, v44
	v_add_f32_e32 v54, v38, v47
	v_fma_f32 v38, v98, s16, -v39
	v_mul_f32_e32 v44, 0x3f52af12, v84
	v_add_f32_e32 v33, v33, v45
	v_mov_b32_e32 v35, v37
	v_add_f32_e32 v55, v38, v49
	v_fma_f32 v38, v89, s10, -v44
	v_mul_f32_e32 v45, 0x3f52af12, v99
	v_fmac_f32_e32 v44, 0x3f116cb1, v89
	v_add_f32_e32 v80, v52, v80
	v_fmac_f32_e32 v35, 0x3f62ad3f, v98
	v_add_f32_e32 v52, v44, v50
	v_fma_f32 v44, v98, s10, -v45
	v_mul_f32_e32 v46, 0xbf6f5d39, v84
	v_add_f32_e32 v35, v35, v53
	v_add_f32_e32 v53, v44, v81
	v_fma_f32 v44, v89, s11, -v46
	v_mul_f32_e32 v47, 0xbf6f5d39, v99
	v_fmac_f32_e32 v46, 0xbeb58ec6, v89
	v_add_f32_e32 v36, v36, v48
	v_add_f32_e32 v50, v46, v83
	v_fma_f32 v46, v98, s11, -v47
	v_mul_f32_e32 v48, 0x3f7e222b, v84
	v_mul_f32_e32 v49, 0x3f7e222b, v99
	v_mov_b32_e32 v37, v39
	v_add_f32_e32 v38, v38, v51
	v_mov_b32_e32 v39, v45
	v_mov_b32_e32 v45, v47
	v_add_f32_e32 v51, v46, v75
	v_fma_f32 v46, v89, s9, -v48
	v_mov_b32_e32 v47, v49
	v_fmac_f32_e32 v48, 0x3df6dbef, v89
	v_fmac_f32_e32 v37, 0xbf3f9e67, v98
	;; [unrolled: 1-line block ×5, first 2 shown]
	v_add_f32_e32 v48, v48, v30
	v_fma_f32 v30, v98, s9, -v49
	v_lshl_add_u32 v89, v85, 3, v87
	v_add_f32_e32 v37, v37, v76
	v_add_f32_e32 v39, v39, v78
	v_add_f32_e32 v44, v44, v82
	v_add_f32_e32 v45, v45, v80
	v_add_f32_e32 v46, v46, v77
	v_add_f32_e32 v47, v47, v79
	v_add_f32_e32 v49, v30, v31
	v_add_u32_e32 v31, 0x400, v89
	v_add_u32_e32 v30, 0x800, v89
	ds_write_b64 v89, v[73:74]
	ds_write2_b64 v89, v[32:33], v[34:35] offset0:34 offset1:68
	ds_write2_b64 v89, v[36:37], v[38:39] offset0:102 offset1:136
	;; [unrolled: 1-line block ×6, first 2 shown]
	s_waitcnt lgkmcnt(0)
	s_barrier
	s_and_saveexec_b64 s[8:9], s[0:1]
	s_cbranch_execz .LBB0_13
; %bb.12:
	global_load_dwordx2 v[75:76], v86, s[12:13] offset:3536
	s_add_u32 s10, s12, 0xdd0
	s_addc_u32 s11, s13, 0
	global_load_dwordx2 v[83:84], v86, s[10:11] offset:208
	global_load_dwordx2 v[117:118], v86, s[10:11] offset:416
	;; [unrolled: 1-line block ×14, first 2 shown]
	ds_read_b64 v[77:78], v89
	global_load_dwordx2 v[143:144], v86, s[10:11] offset:3120
	global_load_dwordx2 v[145:146], v86, s[10:11] offset:3328
	s_waitcnt vmcnt(16) lgkmcnt(0)
	v_mul_f32_e32 v79, v78, v76
	v_mul_f32_e32 v80, v77, v76
	v_fma_f32 v79, v77, v75, -v79
	v_fmac_f32_e32 v80, v78, v75
	ds_write_b64 v89, v[79:80]
	ds_read2_b64 v[75:78], v89 offset0:26 offset1:52
	ds_read2_b64 v[79:82], v89 offset0:78 offset1:104
	;; [unrolled: 1-line block ×7, first 2 shown]
	s_waitcnt vmcnt(15) lgkmcnt(6)
	v_mul_f32_e32 v147, v76, v84
	v_mul_f32_e32 v148, v75, v84
	s_waitcnt vmcnt(14)
	v_mul_f32_e32 v149, v78, v118
	v_mul_f32_e32 v84, v77, v118
	s_waitcnt vmcnt(13) lgkmcnt(5)
	v_mul_f32_e32 v150, v80, v120
	v_mul_f32_e32 v118, v79, v120
	s_waitcnt vmcnt(12)
	v_mul_f32_e32 v151, v82, v122
	v_mul_f32_e32 v120, v81, v122
	;; [unrolled: 6-line block ×6, first 2 shown]
	v_fma_f32 v147, v75, v83, -v147
	v_fmac_f32_e32 v148, v76, v83
	v_fma_f32 v83, v77, v117, -v149
	v_fmac_f32_e32 v84, v78, v117
	;; [unrolled: 2-line block ×12, first 2 shown]
	ds_write2_b64 v89, v[147:148], v[83:84] offset0:26 offset1:52
	ds_write2_b64 v89, v[117:118], v[119:120] offset0:78 offset1:104
	;; [unrolled: 1-line block ×6, first 2 shown]
	ds_read2_b64 v[75:78], v30 offset0:134 offset1:160
	s_waitcnt vmcnt(3) lgkmcnt(7)
	v_mul_f32_e32 v160, v114, v140
	v_mul_f32_e32 v138, v113, v140
	s_waitcnt vmcnt(2)
	v_mul_f32_e32 v140, v116, v142
	v_mul_f32_e32 v80, v115, v142
	v_fma_f32 v137, v113, v139, -v160
	v_fmac_f32_e32 v138, v114, v139
	v_fma_f32 v79, v115, v141, -v140
	v_fmac_f32_e32 v80, v116, v141
	ds_write2_b64 v30, v[137:138], v[79:80] offset0:82 offset1:108
	s_waitcnt vmcnt(1) lgkmcnt(1)
	v_mul_f32_e32 v31, v76, v144
	v_mul_f32_e32 v80, v75, v144
	v_fma_f32 v79, v75, v143, -v31
	v_fmac_f32_e32 v80, v76, v143
	s_waitcnt vmcnt(0)
	v_mul_f32_e32 v31, v78, v146
	v_mul_f32_e32 v76, v77, v146
	v_fma_f32 v75, v77, v145, -v31
	v_fmac_f32_e32 v76, v78, v145
	ds_write2_b64 v30, v[79:80], v[75:76] offset0:134 offset1:160
.LBB0_13:
	s_or_b64 exec, exec, s[8:9]
	s_waitcnt lgkmcnt(0)
	s_barrier
	s_and_saveexec_b64 s[8:9], s[0:1]
	s_cbranch_execz .LBB0_15
; %bb.14:
	ds_read_b64 v[73:74], v89
	ds_read2_b64 v[32:35], v89 offset0:26 offset1:52
	ds_read2_b64 v[36:39], v89 offset0:78 offset1:104
	;; [unrolled: 1-line block ×4, first 2 shown]
	v_add_u32_e32 v40, 0x800, v89
	v_add_u32_e32 v41, 0x400, v89
	ds_read2_b64 v[28:31], v40 offset0:82 offset1:108
	ds_read2_b64 v[0:3], v40 offset0:134 offset1:160
	;; [unrolled: 1-line block ×4, first 2 shown]
	s_waitcnt lgkmcnt(3)
	v_mov_b32_e32 v57, v30
	v_mov_b32_e32 v58, v31
.LBB0_15:
	s_or_b64 exec, exec, s[8:9]
	s_waitcnt lgkmcnt(2)
	v_sub_f32_e32 v113, v33, v3
	v_add_f32_e32 v97, v2, v32
	v_add_f32_e32 v115, v3, v33
	s_mov_b32 s10, 0x3dbcf732
	v_mul_f32_e32 v129, 0xbf7ee86f, v113
	v_sub_f32_e32 v114, v35, v1
	v_mul_f32_e32 v130, 0x3dbcf732, v115
	v_fma_f32 v30, v97, s10, -v129
	v_add_f32_e32 v98, v0, v34
	v_add_f32_e32 v117, v1, v35
	s_mov_b32 s16, 0xbf7ba420
	v_mul_f32_e32 v131, 0xbe3c28d5, v114
	v_sub_f32_e32 v99, v32, v2
	v_add_f32_e32 v30, v73, v30
	v_mov_b32_e32 v31, v130
	v_mul_f32_e32 v132, 0xbf7ba420, v117
	v_fma_f32 v77, v98, s16, -v131
	v_fmac_f32_e32 v31, 0xbf7ee86f, v99
	s_mov_b32 s11, 0xbe8c1d8e
	v_mul_f32_e32 v134, 0xbf763a35, v113
	v_sub_f32_e32 v101, v34, v0
	v_add_f32_e32 v30, v77, v30
	v_mov_b32_e32 v77, v132
	v_add_f32_e32 v31, v74, v31
	v_mul_f32_e32 v137, 0xbe8c1d8e, v115
	v_fma_f32 v75, v97, s11, -v134
	v_fmac_f32_e32 v77, 0xbe3c28d5, v101
	s_mov_b32 s17, 0xbf59a7d5
	v_mul_f32_e32 v138, 0x3f06c442, v114
	v_add_f32_e32 v75, v73, v75
	v_mov_b32_e32 v76, v137
	v_add_f32_e32 v31, v77, v31
	v_mul_f32_e32 v141, 0xbf59a7d5, v117
	v_fma_f32 v77, v98, s17, -v138
	v_fmac_f32_e32 v76, 0xbf763a35, v99
	v_add_f32_e32 v75, v77, v75
	v_mov_b32_e32 v77, v141
	v_sub_f32_e32 v116, v37, v58
	v_add_f32_e32 v76, v74, v76
	v_fmac_f32_e32 v77, 0x3f06c442, v101
	v_add_f32_e32 v100, v57, v36
	v_add_f32_e32 v119, v58, v37
	v_mul_f32_e32 v133, 0x3f763a35, v116
	v_add_f32_e32 v76, v77, v76
	v_mul_f32_e32 v135, 0xbe8c1d8e, v119
	v_fma_f32 v77, v100, s11, -v133
	v_sub_f32_e32 v103, v36, v57
	v_add_f32_e32 v30, v77, v30
	v_mov_b32_e32 v77, v135
	v_fmac_f32_e32 v77, 0x3f763a35, v103
	s_mov_b32 s18, 0x3f3d2fb0
	v_mul_f32_e32 v142, 0x3f2c7751, v116
	v_add_f32_e32 v31, v77, v31
	v_mul_f32_e32 v145, 0x3f3d2fb0, v119
	v_fma_f32 v77, v100, s18, -v142
	v_add_f32_e32 v75, v77, v75
	v_mov_b32_e32 v77, v145
	v_sub_f32_e32 v118, v39, v29
	v_fmac_f32_e32 v77, 0x3f2c7751, v103
	v_add_f32_e32 v102, v28, v38
	v_add_f32_e32 v121, v29, v39
	s_mov_b32 s19, 0x3f6eb680
	v_mul_f32_e32 v136, 0x3eb8f4ab, v118
	v_add_f32_e32 v76, v77, v76
	v_mul_f32_e32 v139, 0x3f6eb680, v121
	v_fma_f32 v77, v102, s19, -v136
	v_sub_f32_e32 v105, v38, v28
	v_add_f32_e32 v30, v77, v30
	v_mov_b32_e32 v77, v139
	v_fmac_f32_e32 v77, 0x3eb8f4ab, v105
	s_mov_b32 s20, 0x3ee437d1
	v_mul_f32_e32 v146, 0xbf65296c, v118
	v_add_f32_e32 v31, v77, v31
	v_mul_f32_e32 v150, 0x3ee437d1, v121
	v_fma_f32 v77, v102, s20, -v146
	v_add_f32_e32 v75, v77, v75
	v_mov_b32_e32 v77, v150
	s_waitcnt lgkmcnt(0)
	v_sub_f32_e32 v120, v45, v43
	v_fmac_f32_e32 v77, 0xbf65296c, v105
	v_add_f32_e32 v104, v42, v44
	v_add_f32_e32 v124, v43, v45
	v_mul_f32_e32 v140, 0xbf65296c, v120
	v_add_f32_e32 v76, v77, v76
	v_mul_f32_e32 v144, 0x3ee437d1, v124
	v_fma_f32 v77, v104, s20, -v140
	v_sub_f32_e32 v107, v44, v42
	v_add_f32_e32 v30, v77, v30
	v_mov_b32_e32 v77, v144
	v_fmac_f32_e32 v77, 0xbf65296c, v107
	v_mul_f32_e32 v149, 0xbe3c28d5, v120
	v_add_f32_e32 v31, v77, v31
	v_mul_f32_e32 v154, 0xbf7ba420, v124
	v_fma_f32 v77, v104, s16, -v149
	v_add_f32_e32 v75, v77, v75
	v_mov_b32_e32 v77, v154
	v_sub_f32_e32 v122, v47, v41
	v_fmac_f32_e32 v77, 0xbe3c28d5, v107
	v_add_f32_e32 v106, v40, v46
	v_add_f32_e32 v126, v41, v47
	v_mul_f32_e32 v143, 0xbf06c442, v122
	v_add_f32_e32 v76, v77, v76
	v_mul_f32_e32 v147, 0xbf59a7d5, v126
	v_fma_f32 v77, v106, s17, -v143
	v_sub_f32_e32 v109, v46, v40
	v_add_f32_e32 v30, v77, v30
	v_mov_b32_e32 v77, v147
	v_fmac_f32_e32 v77, 0xbf06c442, v109
	v_mul_f32_e32 v153, 0x3f7ee86f, v122
	v_add_f32_e32 v31, v77, v31
	v_mul_f32_e32 v156, 0x3dbcf732, v126
	v_fma_f32 v77, v106, s10, -v153
	v_add_f32_e32 v75, v77, v75
	v_mov_b32_e32 v77, v156
	v_sub_f32_e32 v123, v49, v55
	v_fmac_f32_e32 v77, 0x3f7ee86f, v109
	v_add_f32_e32 v108, v54, v48
	v_add_f32_e32 v127, v55, v49
	s_mov_b32 s21, 0xbf1a4643
	v_mul_f32_e32 v148, 0x3f4c4adb, v123
	v_add_f32_e32 v76, v77, v76
	v_mul_f32_e32 v152, 0xbf1a4643, v127
	v_fma_f32 v77, v108, s21, -v148
	v_sub_f32_e32 v111, v48, v54
	v_add_f32_e32 v30, v77, v30
	v_mov_b32_e32 v77, v152
	v_fmac_f32_e32 v77, 0x3f4c4adb, v111
	v_mul_f32_e32 v157, 0xbeb8f4ab, v123
	v_add_f32_e32 v31, v77, v31
	v_mul_f32_e32 v159, 0x3f6eb680, v127
	v_fma_f32 v77, v108, s19, -v157
	v_add_f32_e32 v77, v77, v75
	v_mov_b32_e32 v75, v159
	v_sub_f32_e32 v125, v51, v53
	v_fmac_f32_e32 v75, 0xbeb8f4ab, v111
	v_add_f32_e32 v110, v52, v50
	v_add_f32_e32 v128, v53, v51
	v_mul_f32_e32 v151, 0x3f2c7751, v125
	v_add_f32_e32 v78, v75, v76
	v_mul_f32_e32 v155, 0x3f3d2fb0, v128
	v_fma_f32 v75, v110, s18, -v151
	v_sub_f32_e32 v112, v50, v52
	v_add_f32_e32 v75, v75, v30
	v_mov_b32_e32 v30, v155
	v_fmac_f32_e32 v30, 0x3f2c7751, v112
	v_mul_f32_e32 v158, 0xbf4c4adb, v125
	v_add_f32_e32 v76, v30, v31
	v_mul_f32_e32 v160, 0xbf1a4643, v128
	v_fma_f32 v30, v110, s21, -v158
	v_add_f32_e32 v77, v30, v77
	v_mov_b32_e32 v30, v160
	v_fmac_f32_e32 v30, 0xbf4c4adb, v112
	v_add_f32_e32 v78, v30, v78
	s_barrier
	s_and_saveexec_b64 s[8:9], s[0:1]
	s_cbranch_execz .LBB0_17
; %bb.16:
	v_mul_f32_e32 v81, 0xbf06c442, v99
	v_mov_b32_e32 v30, v81
	v_mul_f32_e32 v82, 0x3f65296c, v101
	v_fmac_f32_e32 v30, 0xbf59a7d5, v115
	v_mov_b32_e32 v31, v82
	v_add_f32_e32 v30, v74, v30
	v_fmac_f32_e32 v31, 0x3ee437d1, v117
	v_mul_f32_e32 v83, 0xbf7ee86f, v103
	v_add_f32_e32 v30, v31, v30
	v_mov_b32_e32 v31, v83
	v_fmac_f32_e32 v31, 0x3dbcf732, v119
	v_mul_f32_e32 v84, 0x3f4c4adb, v105
	v_add_f32_e32 v30, v31, v30
	v_mov_b32_e32 v31, v84
	;; [unrolled: 4-line block ×3, first 2 shown]
	v_mul_f32_e32 v164, 0xbf763a35, v99
	v_fmac_f32_e32 v31, 0x3f6eb680, v124
	v_mul_f32_e32 v194, 0xbe3c28d5, v109
	v_mul_f32_e32 v168, 0x3f06c442, v101
	v_add_f32_e32 v30, v31, v30
	v_mov_b32_e32 v31, v194
	v_sub_f32_e32 v137, v137, v164
	v_mul_f32_e32 v172, 0x3f2c7751, v103
	v_fmac_f32_e32 v31, 0xbf7ba420, v126
	v_mul_f32_e32 v195, 0x3f2c7751, v111
	v_add_f32_e32 v137, v74, v137
	v_sub_f32_e32 v141, v141, v168
	v_mul_f32_e32 v176, 0xbf65296c, v105
	v_add_f32_e32 v30, v31, v30
	v_mov_b32_e32 v31, v195
	v_add_f32_e32 v137, v141, v137
	v_sub_f32_e32 v141, v145, v172
	v_mul_f32_e32 v180, 0xbe3c28d5, v107
	v_fmac_f32_e32 v31, 0x3f3d2fb0, v127
	v_mul_f32_e32 v196, 0xbf763a35, v112
	v_add_f32_e32 v137, v141, v137
	v_sub_f32_e32 v141, v150, v176
	v_mul_f32_e32 v161, 0x3dbcf732, v97
	v_mul_f32_e32 v184, 0x3f7ee86f, v109
	v_add_f32_e32 v30, v31, v30
	v_mov_b32_e32 v31, v196
	v_add_f32_e32 v137, v141, v137
	v_sub_f32_e32 v141, v154, v180
	v_add_f32_e32 v33, v33, v74
	v_mul_f32_e32 v162, 0xbf7ee86f, v99
	v_mul_f32_e32 v165, 0xbf7ba420, v98
	;; [unrolled: 1-line block ×3, first 2 shown]
	v_fmac_f32_e32 v31, 0xbe8c1d8e, v128
	v_mul_f32_e32 v197, 0xbf06c442, v113
	v_add_f32_e32 v137, v141, v137
	v_sub_f32_e32 v141, v156, v184
	v_add_f32_e32 v129, v161, v129
	v_add_f32_e32 v33, v35, v33
	v_mul_f32_e32 v163, 0xbe8c1d8e, v97
	v_mul_f32_e32 v166, 0xbe3c28d5, v101
	;; [unrolled: 1-line block ×4, first 2 shown]
	v_add_f32_e32 v31, v31, v30
	v_fma_f32 v30, v97, s17, -v197
	v_mul_f32_e32 v198, 0x3f65296c, v114
	v_add_f32_e32 v137, v141, v137
	v_sub_f32_e32 v141, v159, v188
	v_sub_f32_e32 v130, v130, v162
	v_add_f32_e32 v129, v73, v129
	v_add_f32_e32 v131, v165, v131
	;; [unrolled: 1-line block ×3, first 2 shown]
	v_mul_f32_e32 v167, 0xbf59a7d5, v98
	v_mul_f32_e32 v170, 0x3f763a35, v103
	;; [unrolled: 1-line block ×3, first 2 shown]
	v_add_f32_e32 v30, v73, v30
	v_fma_f32 v79, v98, s20, -v198
	v_mul_f32_e32 v199, 0xbf7ee86f, v116
	v_add_f32_e32 v137, v141, v137
	v_sub_f32_e32 v141, v160, v192
	v_add_f32_e32 v134, v163, v134
	v_add_f32_e32 v130, v74, v130
	v_sub_f32_e32 v132, v132, v166
	v_add_f32_e32 v129, v131, v129
	v_add_f32_e32 v131, v169, v133
	;; [unrolled: 1-line block ×3, first 2 shown]
	v_mul_f32_e32 v171, 0x3f3d2fb0, v100
	v_mul_f32_e32 v174, 0x3eb8f4ab, v105
	;; [unrolled: 1-line block ×3, first 2 shown]
	v_add_f32_e32 v30, v79, v30
	v_fma_f32 v79, v100, s10, -v199
	v_mul_f32_e32 v200, 0x3f4c4adb, v118
	v_add_f32_e32 v150, v141, v137
	v_add_f32_e32 v134, v73, v134
	;; [unrolled: 1-line block ×4, first 2 shown]
	v_sub_f32_e32 v132, v135, v170
	v_add_f32_e32 v129, v131, v129
	v_add_f32_e32 v131, v173, v136
	v_add_f32_e32 v33, v45, v33
	v_mul_f32_e32 v175, 0x3ee437d1, v102
	v_mul_f32_e32 v178, 0xbf65296c, v107
	v_mul_f32_e32 v181, 0xbf59a7d5, v106
	v_add_f32_e32 v30, v79, v30
	v_fma_f32 v79, v102, s21, -v200
	v_mul_f32_e32 v201, 0xbeb8f4ab, v120
	v_add_f32_e32 v134, v137, v134
	v_add_f32_e32 v137, v171, v142
	v_add_f32_e32 v130, v132, v130
	v_sub_f32_e32 v132, v139, v174
	v_add_f32_e32 v129, v131, v129
	v_add_f32_e32 v131, v177, v140
	v_add_f32_e32 v33, v47, v33
	v_mul_f32_e32 v179, 0xbf7ba420, v104
	v_mul_f32_e32 v182, 0xbf06c442, v109
	v_mul_f32_e32 v185, 0xbf1a4643, v108
	v_add_f32_e32 v30, v79, v30
	v_fma_f32 v79, v104, s19, -v201
	v_mul_f32_e32 v202, 0xbe3c28d5, v122
	v_add_f32_e32 v134, v137, v134
	v_add_f32_e32 v137, v175, v146
	v_add_f32_e32 v130, v132, v130
	;; [unrolled: 13-line block ×3, first 2 shown]
	v_sub_f32_e32 v132, v147, v182
	v_add_f32_e32 v129, v131, v129
	v_add_f32_e32 v131, v185, v148
	;; [unrolled: 1-line block ×3, first 2 shown]
	v_mul_f32_e32 v187, 0x3f6eb680, v108
	v_mul_f32_e32 v190, 0x3f2c7751, v112
	v_add_f32_e32 v30, v79, v30
	v_fma_f32 v79, v108, s18, -v203
	v_mul_f32_e32 v204, 0xbf763a35, v125
	v_add_f32_e32 v134, v137, v134
	v_add_f32_e32 v137, v183, v153
	;; [unrolled: 1-line block ×3, first 2 shown]
	v_sub_f32_e32 v132, v152, v186
	v_add_f32_e32 v129, v131, v129
	v_add_f32_e32 v131, v189, v151
	v_mul_f32_e32 v135, 0x3ee437d1, v115
	v_add_f32_e32 v33, v53, v33
	v_mul_f32_e32 v191, 0xbf1a4643, v110
	v_add_f32_e32 v30, v79, v30
	v_fma_f32 v79, v110, s11, -v204
	v_mul_f32_e32 v205, 0xbf7ba420, v115
	v_add_f32_e32 v134, v137, v134
	v_add_f32_e32 v137, v187, v157
	;; [unrolled: 1-line block ×3, first 2 shown]
	v_sub_f32_e32 v132, v155, v190
	v_add_f32_e32 v129, v131, v129
	v_mov_b32_e32 v131, v135
	v_mul_f32_e32 v136, 0xbf1a4643, v117
	v_add_f32_e32 v33, v55, v33
	v_add_f32_e32 v30, v79, v30
	v_mov_b32_e32 v79, v205
	v_mul_f32_e32 v206, 0x3f6eb680, v117
	v_add_f32_e32 v134, v137, v134
	v_add_f32_e32 v137, v191, v158
	;; [unrolled: 1-line block ×3, first 2 shown]
	v_fmac_f32_e32 v131, 0x3f65296c, v99
	v_mov_b32_e32 v132, v136
	v_add_f32_e32 v33, v41, v33
	v_fmac_f32_e32 v79, 0x3e3c28d5, v99
	v_mov_b32_e32 v80, v206
	v_add_f32_e32 v149, v137, v134
	v_add_f32_e32 v131, v74, v131
	v_fmac_f32_e32 v132, 0x3f4c4adb, v101
	v_mul_f32_e32 v137, 0xbf7ba420, v119
	v_add_f32_e32 v33, v43, v33
	v_add_f32_e32 v79, v74, v79
	v_fmac_f32_e32 v80, 0xbeb8f4ab, v101
	v_mul_f32_e32 v207, 0xbf59a7d5, v119
	v_add_f32_e32 v131, v132, v131
	v_mov_b32_e32 v132, v137
	v_add_f32_e32 v29, v29, v33
	v_add_f32_e32 v79, v80, v79
	v_mov_b32_e32 v80, v207
	v_fmac_f32_e32 v132, 0xbe3c28d5, v103
	v_mul_f32_e32 v138, 0xbe8c1d8e, v121
	v_add_f32_e32 v29, v58, v29
	v_fmac_f32_e32 v80, 0x3f06c442, v103
	v_mul_f32_e32 v208, 0x3f3d2fb0, v121
	v_add_f32_e32 v131, v132, v131
	v_mov_b32_e32 v132, v138
	v_add_f32_e32 v1, v1, v29
	v_add_f32_e32 v79, v80, v79
	v_mov_b32_e32 v80, v208
	v_fmac_f32_e32 v132, 0xbf763a35, v105
	v_mul_f32_e32 v139, 0x3f3d2fb0, v124
	v_add_f32_e32 v1, v3, v1
	v_add_f32_e32 v3, v32, v73
	v_fmac_f32_e32 v80, 0xbf2c7751, v105
	v_mul_f32_e32 v209, 0xbf1a4643, v124
	v_add_f32_e32 v131, v132, v131
	v_mov_b32_e32 v132, v139
	v_add_f32_e32 v3, v34, v3
	v_add_f32_e32 v79, v80, v79
	v_mov_b32_e32 v80, v209
	v_fmac_f32_e32 v132, 0xbf2c7751, v107
	v_mul_f32_e32 v140, 0x3f6eb680, v126
	v_add_f32_e32 v3, v36, v3
	v_fmac_f32_e32 v80, 0x3f4c4adb, v107
	v_mul_f32_e32 v210, 0x3ee437d1, v126
	v_add_f32_e32 v131, v132, v131
	v_mov_b32_e32 v132, v140
	v_add_f32_e32 v3, v38, v3
	v_add_f32_e32 v79, v80, v79
	v_mov_b32_e32 v80, v210
	v_fmac_f32_e32 v132, 0x3eb8f4ab, v109
	v_mul_f32_e32 v141, 0x3dbcf732, v127
	v_add_f32_e32 v3, v44, v3
	v_fmac_f32_e32 v80, 0xbf65296c, v109
	v_mul_f32_e32 v211, 0xbe8c1d8e, v127
	v_fma_f32 v81, v115, s17, -v81
	v_add_f32_e32 v131, v132, v131
	v_mov_b32_e32 v132, v141
	v_add_f32_e32 v3, v46, v3
	v_add_f32_e32 v79, v80, v79
	v_mov_b32_e32 v80, v211
	v_add_f32_e32 v81, v74, v81
	v_fma_f32 v82, v117, s20, -v82
	v_fmac_f32_e32 v132, 0x3f7ee86f, v111
	v_mul_f32_e32 v142, 0xbf59a7d5, v128
	v_add_f32_e32 v3, v48, v3
	v_fmac_f32_e32 v80, 0x3f763a35, v111
	v_mul_f32_e32 v212, 0x3dbcf732, v128
	v_add_f32_e32 v81, v82, v81
	v_fma_f32 v82, v119, s10, -v83
	v_add_f32_e32 v131, v132, v131
	v_mov_b32_e32 v132, v142
	v_add_f32_e32 v3, v50, v3
	v_add_f32_e32 v79, v80, v79
	v_mov_b32_e32 v80, v212
	v_add_f32_e32 v81, v82, v81
	v_fma_f32 v82, v121, s21, -v84
	v_fmac_f32_e32 v132, 0x3f06c442, v112
	v_mul_f32_e32 v143, 0xbf65296c, v113
	v_add_f32_e32 v3, v52, v3
	v_fmac_f32_e32 v80, 0xbf7ee86f, v112
	v_mul_f32_e32 v213, 0xbe3c28d5, v113
	v_add_f32_e32 v81, v82, v81
	v_fma_f32 v82, v124, s19, -v193
	v_mul_f32_e32 v193, 0xbf1a4643, v115
	v_add_f32_e32 v132, v132, v131
	v_mov_b32_e32 v131, v143
	v_mul_f32_e32 v144, 0xbf4c4adb, v114
	v_add_f32_e32 v3, v54, v3
	v_add_f32_e32 v80, v80, v79
	v_mov_b32_e32 v79, v213
	v_mul_f32_e32 v214, 0x3eb8f4ab, v114
	v_add_f32_e32 v81, v82, v81
	v_fma_f32 v82, v126, s16, -v194
	v_mov_b32_e32 v83, v193
	v_mul_f32_e32 v194, 0xbe8c1d8e, v117
	v_fmac_f32_e32 v131, 0x3ee437d1, v97
	v_mov_b32_e32 v133, v144
	v_add_f32_e32 v3, v40, v3
	v_fmac_f32_e32 v79, 0xbf7ba420, v97
	v_mov_b32_e32 v215, v214
	v_fmac_f32_e32 v83, 0x3f4c4adb, v99
	v_mov_b32_e32 v84, v194
	v_add_f32_e32 v131, v73, v131
	v_fmac_f32_e32 v133, 0xbf1a4643, v98
	v_mul_f32_e32 v145, 0x3e3c28d5, v116
	v_add_f32_e32 v3, v42, v3
	v_add_f32_e32 v79, v73, v79
	v_fmac_f32_e32 v215, 0x3f6eb680, v98
	v_add_f32_e32 v81, v82, v81
	v_fma_f32 v82, v127, s18, -v195
	v_add_f32_e32 v83, v74, v83
	v_fmac_f32_e32 v84, 0xbf763a35, v101
	v_mul_f32_e32 v195, 0x3f6eb680, v119
	v_add_f32_e32 v131, v133, v131
	v_mov_b32_e32 v133, v145
	v_add_f32_e32 v3, v28, v3
	v_add_f32_e32 v79, v215, v79
	v_mul_f32_e32 v215, 0xbf06c442, v116
	v_add_f32_e32 v83, v84, v83
	v_mov_b32_e32 v84, v195
	v_fmac_f32_e32 v133, 0xbf7ba420, v100
	v_mul_f32_e32 v146, 0x3f763a35, v118
	v_add_f32_e32 v3, v57, v3
	v_mov_b32_e32 v216, v215
	v_add_f32_e32 v81, v82, v81
	v_fma_f32 v82, v128, s11, -v196
	v_fmac_f32_e32 v84, 0x3eb8f4ab, v103
	v_mul_f32_e32 v196, 0xbf59a7d5, v121
	v_add_f32_e32 v131, v133, v131
	v_mov_b32_e32 v133, v146
	v_add_f32_e32 v0, v0, v3
	v_fmac_f32_e32 v205, 0xbe3c28d5, v99
	v_fmac_f32_e32 v216, 0xbf59a7d5, v100
	v_fmac_f32_e32 v197, 0xbf59a7d5, v97
	v_add_f32_e32 v83, v84, v83
	v_mov_b32_e32 v84, v196
	v_fmac_f32_e32 v133, 0xbe8c1d8e, v102
	v_mul_f32_e32 v147, 0x3f2c7751, v120
	v_add_f32_e32 v0, v2, v0
	v_add_f32_e32 v2, v74, v205
	v_fmac_f32_e32 v206, 0x3eb8f4ab, v101
	v_add_f32_e32 v79, v216, v79
	v_mul_f32_e32 v216, 0x3f2c7751, v118
	v_add_f32_e32 v82, v82, v81
	v_add_f32_e32 v81, v73, v197
	v_fmac_f32_e32 v84, 0x3f06c442, v105
	v_mul_f32_e32 v197, 0x3dbcf732, v124
	v_add_f32_e32 v131, v133, v131
	v_mov_b32_e32 v133, v147
	v_add_f32_e32 v2, v206, v2
	v_fmac_f32_e32 v207, 0xbf06c442, v103
	v_mov_b32_e32 v217, v216
	v_fmac_f32_e32 v198, 0x3ee437d1, v98
	v_add_f32_e32 v83, v84, v83
	v_mov_b32_e32 v84, v197
	v_fmac_f32_e32 v133, 0x3f3d2fb0, v104
	v_mul_f32_e32 v148, 0xbeb8f4ab, v122
	v_add_f32_e32 v2, v207, v2
	v_fmac_f32_e32 v208, 0x3f2c7751, v105
	v_fmac_f32_e32 v217, 0x3f3d2fb0, v102
	v_add_f32_e32 v81, v198, v81
	v_fmac_f32_e32 v84, 0xbf7ee86f, v107
	v_mul_f32_e32 v198, 0x3f3d2fb0, v126
	v_add_f32_e32 v131, v133, v131
	v_mov_b32_e32 v133, v148
	v_add_f32_e32 v2, v208, v2
	v_fmac_f32_e32 v209, 0xbf4c4adb, v107
	v_add_f32_e32 v79, v217, v79
	v_mul_f32_e32 v217, 0xbf4c4adb, v120
	v_fmac_f32_e32 v199, 0x3dbcf732, v100
	v_add_f32_e32 v83, v84, v83
	v_mov_b32_e32 v84, v198
	v_fmac_f32_e32 v133, 0x3f6eb680, v106
	v_mul_f32_e32 v151, 0xbf7ee86f, v123
	v_add_f32_e32 v2, v209, v2
	v_fmac_f32_e32 v210, 0x3f65296c, v109
	v_mov_b32_e32 v218, v217
	v_add_f32_e32 v81, v199, v81
	v_fmac_f32_e32 v84, 0x3f2c7751, v109
	v_mul_f32_e32 v199, 0xbf7ba420, v127
	v_add_f32_e32 v131, v133, v131
	v_mov_b32_e32 v133, v151
	v_add_f32_e32 v2, v210, v2
	v_fmac_f32_e32 v211, 0xbf763a35, v111
	v_fmac_f32_e32 v218, 0xbf1a4643, v104
	;; [unrolled: 1-line block ×3, first 2 shown]
	v_add_f32_e32 v83, v84, v83
	v_mov_b32_e32 v84, v199
	v_fmac_f32_e32 v133, 0x3dbcf732, v108
	v_mul_f32_e32 v152, 0xbf06c442, v125
	v_add_f32_e32 v2, v211, v2
	v_fmac_f32_e32 v212, 0x3f7ee86f, v112
	v_add_f32_e32 v79, v218, v79
	v_mul_f32_e32 v218, 0x3f65296c, v122
	v_add_f32_e32 v81, v200, v81
	v_fmac_f32_e32 v84, 0x3e3c28d5, v111
	v_mul_f32_e32 v200, 0x3ee437d1, v128
	v_add_f32_e32 v131, v133, v131
	v_mov_b32_e32 v133, v152
	v_add_f32_e32 v3, v212, v2
	v_fma_f32 v2, v97, s16, -v213
	v_mov_b32_e32 v219, v218
	v_fmac_f32_e32 v201, 0x3f6eb680, v104
	v_add_f32_e32 v83, v84, v83
	v_mov_b32_e32 v84, v200
	v_fmac_f32_e32 v133, 0xbf59a7d5, v110
	v_mul_f32_e32 v153, 0x3f3d2fb0, v115
	v_add_f32_e32 v2, v73, v2
	v_fma_f32 v28, v98, s19, -v214
	v_fmac_f32_e32 v219, 0x3ee437d1, v106
	v_add_f32_e32 v81, v201, v81
	v_fmac_f32_e32 v202, 0xbf7ba420, v106
	v_fmac_f32_e32 v84, 0xbf65296c, v112
	v_mul_f32_e32 v201, 0xbf4c4adb, v113
	v_add_f32_e32 v131, v133, v131
	v_mov_b32_e32 v133, v153
	v_mul_f32_e32 v154, 0x3dbcf732, v117
	v_add_f32_e32 v2, v28, v2
	v_fma_f32 v28, v100, s17, -v215
	v_add_f32_e32 v79, v219, v79
	v_mul_f32_e32 v219, 0xbf763a35, v123
	v_add_f32_e32 v81, v202, v81
	v_fmac_f32_e32 v203, 0x3f3d2fb0, v108
	v_add_f32_e32 v84, v84, v83
	v_mov_b32_e32 v83, v201
	v_mul_f32_e32 v202, 0x3f763a35, v114
	v_fmac_f32_e32 v133, 0x3f2c7751, v99
	v_mov_b32_e32 v134, v154
	v_add_f32_e32 v2, v28, v2
	v_fma_f32 v28, v102, s18, -v216
	v_mov_b32_e32 v220, v219
	v_add_f32_e32 v81, v203, v81
	v_fmac_f32_e32 v83, 0xbf1a4643, v97
	v_mov_b32_e32 v203, v202
	v_add_f32_e32 v133, v74, v133
	v_fmac_f32_e32 v134, 0x3f7ee86f, v101
	v_mul_f32_e32 v155, 0xbf1a4643, v119
	v_add_f32_e32 v2, v28, v2
	v_fma_f32 v28, v104, s21, -v217
	v_fmac_f32_e32 v220, 0xbe8c1d8e, v108
	v_add_f32_e32 v83, v73, v83
	v_fmac_f32_e32 v203, 0xbe8c1d8e, v98
	v_add_f32_e32 v133, v134, v133
	v_mov_b32_e32 v134, v155
	v_add_f32_e32 v2, v28, v2
	v_fma_f32 v28, v106, s20, -v218
	v_add_f32_e32 v79, v220, v79
	v_mul_f32_e32 v220, 0x3f7ee86f, v125
	v_fmac_f32_e32 v204, 0xbe8c1d8e, v110
	v_add_f32_e32 v83, v203, v83
	v_mul_f32_e32 v203, 0xbeb8f4ab, v116
	v_fmac_f32_e32 v134, 0x3f4c4adb, v103
	v_mul_f32_e32 v156, 0xbf7ba420, v121
	v_add_f32_e32 v2, v28, v2
	v_fma_f32 v28, v108, s11, -v219
	v_add_f32_e32 v81, v204, v81
	v_mov_b32_e32 v204, v203
	v_add_f32_e32 v133, v134, v133
	v_mov_b32_e32 v134, v156
	v_add_f32_e32 v2, v28, v2
	v_fma_f32 v28, v110, s10, -v220
	v_fmac_f32_e32 v193, 0xbf4c4adb, v99
	v_mov_b32_e32 v221, v220
	v_fmac_f32_e32 v204, 0x3f6eb680, v100
	v_fmac_f32_e32 v134, 0x3e3c28d5, v105
	v_mul_f32_e32 v157, 0xbf59a7d5, v124
	v_add_f32_e32 v2, v28, v2
	v_add_f32_e32 v28, v74, v193
	v_fmac_f32_e32 v194, 0x3f763a35, v101
	v_fmac_f32_e32 v221, 0x3dbcf732, v110
	v_add_f32_e32 v83, v204, v83
	v_mul_f32_e32 v204, 0xbf06c442, v118
	v_add_f32_e32 v133, v134, v133
	v_mov_b32_e32 v134, v157
	v_add_f32_e32 v28, v194, v28
	v_fmac_f32_e32 v195, 0xbeb8f4ab, v103
	v_add_f32_e32 v79, v221, v79
	v_mov_b32_e32 v221, v204
	v_fmac_f32_e32 v134, 0xbf06c442, v107
	v_mul_f32_e32 v158, 0xbe8c1d8e, v126
	v_add_f32_e32 v28, v195, v28
	v_fmac_f32_e32 v196, 0xbf06c442, v105
	v_fmac_f32_e32 v221, 0xbf59a7d5, v102
	v_add_f32_e32 v133, v134, v133
	v_mov_b32_e32 v134, v158
	v_add_f32_e32 v28, v196, v28
	v_fmac_f32_e32 v197, 0x3f7ee86f, v107
	v_add_f32_e32 v83, v221, v83
	v_mul_f32_e32 v221, 0x3f7ee86f, v120
	v_fmac_f32_e32 v134, 0xbf763a35, v109
	v_mul_f32_e32 v159, 0x3ee437d1, v127
	v_add_f32_e32 v28, v197, v28
	v_fmac_f32_e32 v198, 0xbf2c7751, v109
	v_mov_b32_e32 v222, v221
	v_add_f32_e32 v133, v134, v133
	v_mov_b32_e32 v134, v159
	v_add_f32_e32 v28, v198, v28
	v_fmac_f32_e32 v199, 0xbe3c28d5, v111
	v_fmac_f32_e32 v222, 0x3dbcf732, v104
	;; [unrolled: 1-line block ×3, first 2 shown]
	v_mul_f32_e32 v160, 0x3f6eb680, v128
	v_add_f32_e32 v28, v199, v28
	v_fmac_f32_e32 v200, 0x3f65296c, v112
	v_add_f32_e32 v83, v222, v83
	v_mul_f32_e32 v222, 0xbf2c7751, v122
	v_add_f32_e32 v133, v134, v133
	v_mov_b32_e32 v134, v160
	v_add_f32_e32 v29, v200, v28
	v_fma_f32 v28, v97, s21, -v201
	v_mov_b32_e32 v223, v222
	v_fmac_f32_e32 v134, 0xbeb8f4ab, v112
	v_mul_f32_e32 v161, 0xbf2c7751, v113
	v_add_f32_e32 v28, v73, v28
	v_fma_f32 v32, v98, s11, -v202
	v_fmac_f32_e32 v223, 0x3f3d2fb0, v106
	v_add_f32_e32 v134, v134, v133
	v_mov_b32_e32 v133, v161
	v_mul_f32_e32 v162, 0xbf7ee86f, v114
	v_add_f32_e32 v28, v32, v28
	v_fma_f32 v32, v100, s19, -v203
	v_add_f32_e32 v83, v223, v83
	v_mul_f32_e32 v223, 0xbe3c28d5, v123
	v_fmac_f32_e32 v133, 0x3f3d2fb0, v97
	v_mov_b32_e32 v163, v162
	v_add_f32_e32 v28, v32, v28
	v_fma_f32 v32, v102, s17, -v204
	v_mov_b32_e32 v224, v223
	v_add_f32_e32 v133, v73, v133
	v_fmac_f32_e32 v163, 0x3dbcf732, v98
	v_add_f32_e32 v28, v32, v28
	v_fma_f32 v32, v104, s10, -v221
	v_fmac_f32_e32 v224, 0xbf7ba420, v108
	v_add_f32_e32 v133, v163, v133
	v_mul_f32_e32 v163, 0xbf4c4adb, v116
	v_add_f32_e32 v28, v32, v28
	v_fma_f32 v32, v106, s18, -v222
	v_add_f32_e32 v83, v224, v83
	v_mul_f32_e32 v224, 0x3f65296c, v125
	v_mov_b32_e32 v164, v163
	v_add_f32_e32 v28, v32, v28
	v_fma_f32 v32, v108, s16, -v223
	v_fmac_f32_e32 v164, 0xbf1a4643, v100
	v_add_f32_e32 v28, v32, v28
	v_fma_f32 v32, v110, s20, -v224
	v_fmac_f32_e32 v135, 0xbf65296c, v99
	v_add_f32_e32 v133, v164, v133
	v_mul_f32_e32 v164, 0xbe3c28d5, v118
	v_add_f32_e32 v28, v32, v28
	v_add_f32_e32 v32, v74, v135
	v_fmac_f32_e32 v136, 0xbf4c4adb, v101
	v_mov_b32_e32 v165, v164
	v_add_f32_e32 v32, v136, v32
	v_fmac_f32_e32 v137, 0x3e3c28d5, v103
	v_fmac_f32_e32 v165, 0xbf7ba420, v102
	v_add_f32_e32 v32, v137, v32
	v_fmac_f32_e32 v138, 0x3f763a35, v105
	v_add_f32_e32 v133, v165, v133
	v_mul_f32_e32 v165, 0x3f06c442, v120
	v_add_f32_e32 v32, v138, v32
	v_fmac_f32_e32 v139, 0x3f2c7751, v107
	v_mov_b32_e32 v166, v165
	v_add_f32_e32 v32, v139, v32
	v_fmac_f32_e32 v140, 0xbeb8f4ab, v109
	v_fmac_f32_e32 v166, 0xbf59a7d5, v104
	v_add_f32_e32 v32, v140, v32
	v_fmac_f32_e32 v141, 0xbf7ee86f, v111
	v_add_f32_e32 v133, v166, v133
	v_mul_f32_e32 v166, 0x3f763a35, v122
	v_add_f32_e32 v32, v141, v32
	v_fmac_f32_e32 v142, 0xbf06c442, v112
	v_mov_b32_e32 v167, v166
	v_add_f32_e32 v33, v142, v32
	v_fma_f32 v32, v97, s20, -v143
	v_fmac_f32_e32 v167, 0xbe8c1d8e, v106
	v_add_f32_e32 v32, v73, v32
	v_fma_f32 v34, v98, s21, -v144
	v_add_f32_e32 v133, v167, v133
	v_mul_f32_e32 v167, 0x3f65296c, v123
	v_add_f32_e32 v32, v34, v32
	v_fma_f32 v34, v100, s16, -v145
	v_mov_b32_e32 v168, v167
	v_add_f32_e32 v32, v34, v32
	v_fma_f32 v34, v102, s11, -v146
	v_fmac_f32_e32 v168, 0x3ee437d1, v108
	v_add_f32_e32 v32, v34, v32
	v_fma_f32 v34, v104, s18, -v147
	v_add_f32_e32 v133, v168, v133
	v_mul_f32_e32 v168, 0x3eb8f4ab, v125
	v_add_f32_e32 v32, v34, v32
	v_fma_f32 v34, v106, s19, -v148
	v_mov_b32_e32 v169, v168
	v_add_f32_e32 v32, v34, v32
	v_fma_f32 v34, v108, s10, -v151
	v_fmac_f32_e32 v169, 0x3f6eb680, v110
	v_add_f32_e32 v32, v34, v32
	v_fma_f32 v34, v110, s17, -v152
	v_fmac_f32_e32 v153, 0xbf2c7751, v99
	v_add_f32_e32 v133, v169, v133
	v_mul_f32_e32 v169, 0x3f6eb680, v115
	v_add_f32_e32 v32, v34, v32
	v_add_f32_e32 v34, v74, v153
	v_fmac_f32_e32 v154, 0xbf7ee86f, v101
	v_mov_b32_e32 v115, v169
	v_mul_f32_e32 v117, 0x3f3d2fb0, v117
	v_add_f32_e32 v34, v154, v34
	v_fmac_f32_e32 v155, 0xbf4c4adb, v103
	v_fmac_f32_e32 v115, 0x3eb8f4ab, v99
	v_mov_b32_e32 v170, v117
	v_add_f32_e32 v34, v155, v34
	v_fmac_f32_e32 v156, 0xbe3c28d5, v105
	v_add_f32_e32 v115, v74, v115
	v_fmac_f32_e32 v170, 0x3f2c7751, v101
	v_mul_f32_e32 v119, 0x3ee437d1, v119
	v_add_f32_e32 v34, v156, v34
	v_fmac_f32_e32 v157, 0x3f06c442, v107
	v_add_f32_e32 v115, v170, v115
	v_mov_b32_e32 v170, v119
	v_add_f32_e32 v34, v157, v34
	v_fmac_f32_e32 v158, 0x3f763a35, v109
	v_fmac_f32_e32 v170, 0x3f65296c, v103
	v_mul_f32_e32 v121, 0x3dbcf732, v121
	v_add_f32_e32 v34, v158, v34
	v_fmac_f32_e32 v159, 0x3f65296c, v111
	v_add_f32_e32 v115, v170, v115
	v_mov_b32_e32 v170, v121
	v_add_f32_e32 v34, v159, v34
	v_fmac_f32_e32 v160, 0x3eb8f4ab, v112
	v_fmac_f32_e32 v170, 0x3f7ee86f, v105
	v_mul_f32_e32 v124, 0xbe8c1d8e, v124
	v_add_f32_e32 v35, v160, v34
	v_fma_f32 v34, v97, s18, -v161
	v_add_f32_e32 v115, v170, v115
	v_mov_b32_e32 v170, v124
	v_add_f32_e32 v34, v73, v34
	v_fma_f32 v36, v98, s10, -v162
	v_fmac_f32_e32 v170, 0x3f763a35, v107
	v_mul_f32_e32 v126, 0xbf1a4643, v126
	v_add_f32_e32 v34, v36, v34
	v_fma_f32 v36, v100, s21, -v163
	v_add_f32_e32 v115, v170, v115
	v_mov_b32_e32 v170, v126
	v_add_f32_e32 v34, v36, v34
	v_fma_f32 v36, v102, s16, -v164
	;; [unrolled: 8-line block ×4, first 2 shown]
	v_fmac_f32_e32 v169, 0xbeb8f4ab, v99
	v_fmac_f32_e32 v170, 0x3e3c28d5, v112
	v_mul_f32_e32 v113, 0xbeb8f4ab, v113
	v_add_f32_e32 v34, v36, v34
	v_add_f32_e32 v36, v74, v169
	v_fmac_f32_e32 v117, 0xbf2c7751, v101
	v_add_f32_e32 v115, v170, v115
	v_mov_b32_e32 v170, v113
	v_mul_f32_e32 v171, 0xbf2c7751, v114
	v_add_f32_e32 v36, v117, v36
	v_fmac_f32_e32 v119, 0xbf65296c, v103
	v_fmac_f32_e32 v170, 0x3f6eb680, v97
	v_mov_b32_e32 v114, v171
	v_add_f32_e32 v36, v119, v36
	v_fmac_f32_e32 v121, 0xbf7ee86f, v105
	v_add_f32_e32 v170, v73, v170
	v_fmac_f32_e32 v114, 0x3f3d2fb0, v98
	v_mul_f32_e32 v116, 0xbf65296c, v116
	v_add_f32_e32 v36, v121, v36
	v_fmac_f32_e32 v124, 0xbf763a35, v107
	v_add_f32_e32 v114, v114, v170
	v_mov_b32_e32 v170, v116
	v_add_f32_e32 v36, v124, v36
	v_fmac_f32_e32 v126, 0xbf4c4adb, v109
	v_fmac_f32_e32 v170, 0x3ee437d1, v100
	v_mul_f32_e32 v118, 0xbf7ee86f, v118
	v_add_f32_e32 v36, v126, v36
	v_fmac_f32_e32 v127, 0xbf06c442, v111
	v_add_f32_e32 v114, v170, v114
	v_mov_b32_e32 v170, v118
	v_add_f32_e32 v36, v127, v36
	v_fmac_f32_e32 v128, 0xbe3c28d5, v112
	v_fmac_f32_e32 v170, 0x3dbcf732, v102
	v_mul_f32_e32 v120, 0xbf763a35, v120
	v_add_f32_e32 v37, v128, v36
	v_fma_f32 v36, v97, s19, -v113
	v_add_f32_e32 v114, v170, v114
	v_mov_b32_e32 v170, v120
	v_add_f32_e32 v36, v73, v36
	v_fma_f32 v38, v98, s18, -v171
	v_fmac_f32_e32 v170, 0xbe8c1d8e, v104
	v_mul_f32_e32 v122, 0xbf4c4adb, v122
	v_add_f32_e32 v36, v38, v36
	v_fma_f32 v38, v100, s20, -v116
	v_add_f32_e32 v114, v170, v114
	v_mov_b32_e32 v170, v122
	v_add_f32_e32 v36, v38, v36
	v_fma_f32 v38, v102, s10, -v118
	;; [unrolled: 8-line block ×4, first 2 shown]
	v_mov_b32_e32 v225, v224
	v_fmac_f32_e32 v170, 0xbf7ba420, v110
	v_add_f32_e32 v36, v38, v36
	v_mul_lo_u16_e32 v38, 17, v85
	v_fmac_f32_e32 v225, 0x3ee437d1, v110
	v_add_f32_e32 v114, v170, v114
	v_lshl_add_u32 v38, v38, 3, v87
	v_add_f32_e32 v83, v225, v83
	ds_write2_b64 v38, v[0:1], v[114:115] offset1:1
	ds_write2_b64 v38, v[133:134], v[131:132] offset0:2 offset1:3
	ds_write2_b64 v38, v[129:130], v[149:150] offset0:4 offset1:5
	;; [unrolled: 1-line block ×7, first 2 shown]
	ds_write_b64 v38, v[36:37] offset:128
.LBB0_17:
	s_or_b64 exec, exec, s[8:9]
	v_add_u32_e32 v36, 0x800, v88
	s_waitcnt lgkmcnt(0)
	s_barrier
	ds_read2_b64 v[32:35], v88 offset1:34
	ds_read2_b64 v[44:47], v88 offset0:221 offset1:255
	ds_read2_b64 v[28:31], v88 offset0:68 offset1:102
	;; [unrolled: 1-line block ×5, first 2 shown]
	s_and_saveexec_b64 s[8:9], s[2:3]
	s_cbranch_execz .LBB0_19
; %bb.18:
	ds_read_b64 v[77:78], v88 offset:1632
	ds_read_b64 v[75:76], v88 offset:3400
.LBB0_19:
	s_or_b64 exec, exec, s[8:9]
	s_waitcnt lgkmcnt(4)
	v_mul_f32_e32 v48, v68, v45
	v_fmac_f32_e32 v48, v67, v44
	v_mul_f32_e32 v44, v68, v44
	v_fma_f32 v44, v67, v45, -v44
	v_mul_f32_e32 v45, v66, v47
	v_fmac_f32_e32 v45, v65, v46
	v_mul_f32_e32 v46, v66, v46
	v_fma_f32 v46, v65, v47, -v46
	s_waitcnt lgkmcnt(2)
	v_mul_f32_e32 v47, v64, v41
	s_waitcnt lgkmcnt(0)
	v_mul_f32_e32 v50, v72, v37
	v_fmac_f32_e32 v47, v63, v40
	v_mul_f32_e32 v40, v64, v40
	v_fmac_f32_e32 v50, v71, v36
	v_mul_f32_e32 v36, v72, v36
	v_fma_f32 v41, v63, v41, -v40
	v_mul_f32_e32 v49, v62, v43
	v_mul_f32_e32 v40, v62, v42
	v_fma_f32 v51, v71, v37, -v36
	v_mul_f32_e32 v52, v70, v39
	v_mul_f32_e32 v36, v70, v38
	v_fmac_f32_e32 v49, v61, v42
	v_fma_f32 v43, v61, v43, -v40
	v_fmac_f32_e32 v52, v69, v38
	v_fma_f32 v53, v69, v39, -v36
	v_sub_f32_e32 v36, v32, v48
	v_sub_f32_e32 v37, v33, v44
	v_fma_f32 v32, v32, 2.0, -v36
	v_fma_f32 v33, v33, 2.0, -v37
	v_sub_f32_e32 v38, v34, v45
	v_sub_f32_e32 v39, v35, v46
	;; [unrolled: 1-line block ×10, first 2 shown]
	v_fma_f32 v34, v34, 2.0, -v38
	v_fma_f32 v35, v35, 2.0, -v39
	;; [unrolled: 1-line block ×10, first 2 shown]
	s_barrier
	ds_write2_b64 v91, v[32:33], v[36:37] offset1:17
	ds_write2_b64 v92, v[34:35], v[38:39] offset1:17
	;; [unrolled: 1-line block ×6, first 2 shown]
	s_and_saveexec_b64 s[8:9], s[2:3]
	s_cbranch_execz .LBB0_21
; %bb.20:
	v_mul_f32_e32 v0, v60, v75
	v_fma_f32 v0, v59, v76, -v0
	v_sub_f32_e32 v1, v78, v0
	v_mul_f32_e32 v0, v60, v76
	v_fmac_f32_e32 v0, v59, v75
	v_and_b32_e32 v28, 0xff, v90
	v_sub_f32_e32 v0, v77, v0
	v_lshl_add_u32 v28, v28, 3, v87
	v_fma_f32 v3, v78, 2.0, -v1
	v_fma_f32 v2, v77, 2.0, -v0
	v_add_u32_e32 v28, 0x800, v28
	ds_write2_b64 v28, v[2:3], v[0:1] offset0:152 offset1:169
.LBB0_21:
	s_or_b64 exec, exec, s[8:9]
	s_waitcnt lgkmcnt(0)
	s_barrier
	ds_read2_b64 v[0:3], v88 offset1:34
	ds_read2_b64 v[28:31], v88 offset0:68 offset1:102
	ds_read2_b64 v[32:35], v88 offset0:136 offset1:170
	;; [unrolled: 1-line block ×3, first 2 shown]
	v_add_u32_e32 v44, 0x800, v88
	s_waitcnt lgkmcnt(3)
	v_mul_f32_e32 v50, v21, v3
	v_fmac_f32_e32 v50, v20, v2
	v_mul_f32_e32 v2, v21, v2
	v_fma_f32 v20, v20, v3, -v2
	s_waitcnt lgkmcnt(2)
	v_mul_f32_e32 v21, v23, v29
	v_mul_f32_e32 v2, v23, v28
	v_fmac_f32_e32 v21, v22, v28
	v_fma_f32 v22, v22, v29, -v2
	v_mul_f32_e32 v23, v13, v31
	v_mul_f32_e32 v2, v13, v30
	v_fmac_f32_e32 v23, v12, v30
	v_fma_f32 v12, v12, v31, -v2
	s_waitcnt lgkmcnt(1)
	v_mul_f32_e32 v13, v15, v33
	v_mul_f32_e32 v2, v15, v32
	ds_read2_b64 v[40:43], v44 offset0:16 offset1:50
	ds_read2_b64 v[44:47], v44 offset0:84 offset1:118
	ds_read_b64 v[48:49], v88 offset:3264
	v_fmac_f32_e32 v13, v14, v32
	v_fma_f32 v14, v14, v33, -v2
	v_mul_f32_e32 v15, v9, v35
	v_mul_f32_e32 v2, v9, v34
	v_fmac_f32_e32 v15, v8, v34
	v_fma_f32 v8, v8, v35, -v2
	s_waitcnt lgkmcnt(3)
	v_mul_f32_e32 v9, v11, v37
	v_mul_f32_e32 v2, v11, v36
	v_fmac_f32_e32 v9, v10, v36
	v_fma_f32 v10, v10, v37, -v2
	v_mul_f32_e32 v11, v5, v39
	v_mul_f32_e32 v2, v5, v38
	v_fmac_f32_e32 v11, v4, v38
	v_fma_f32 v4, v4, v39, -v2
	s_waitcnt lgkmcnt(2)
	v_mul_f32_e32 v5, v7, v41
	v_mul_f32_e32 v2, v7, v40
	v_fmac_f32_e32 v5, v6, v40
	v_fma_f32 v6, v6, v41, -v2
	v_mul_f32_e32 v7, v25, v43
	v_mul_f32_e32 v2, v25, v42
	v_add_f32_e32 v3, v1, v20
	v_fmac_f32_e32 v7, v24, v42
	v_fma_f32 v24, v24, v43, -v2
	s_waitcnt lgkmcnt(1)
	v_mul_f32_e32 v25, v27, v45
	v_mul_f32_e32 v2, v27, v44
	v_add_f32_e32 v3, v3, v22
	v_fmac_f32_e32 v25, v26, v44
	v_fma_f32 v26, v26, v45, -v2
	v_mul_f32_e32 v27, v17, v47
	v_mul_f32_e32 v2, v17, v46
	v_add_f32_e32 v3, v3, v12
	v_fmac_f32_e32 v27, v16, v46
	v_fma_f32 v16, v16, v47, -v2
	s_waitcnt lgkmcnt(0)
	v_mul_f32_e32 v17, v19, v49
	v_mul_f32_e32 v2, v19, v48
	v_add_f32_e32 v3, v3, v14
	v_fmac_f32_e32 v17, v18, v48
	v_fma_f32 v18, v18, v49, -v2
	v_add_f32_e32 v2, v0, v50
	v_add_f32_e32 v3, v3, v8
	;; [unrolled: 1-line block ×17, first 2 shown]
	v_sub_f32_e32 v18, v20, v18
	v_add_f32_e32 v2, v2, v7
	v_mul_f32_e32 v20, 0xbeedf032, v18
	v_mul_f32_e32 v32, 0xbf52af12, v18
	;; [unrolled: 1-line block ×6, first 2 shown]
	v_add_f32_e32 v2, v2, v25
	v_add_f32_e32 v19, v50, v17
	s_mov_b32 s8, 0x3f62ad3f
	v_mov_b32_e32 v29, v20
	s_mov_b32 s3, 0x3f116cb1
	v_mov_b32_e32 v33, v32
	;; [unrolled: 2-line block ×6, first 2 shown]
	v_add_f32_e32 v2, v2, v27
	v_fmac_f32_e32 v29, 0x3f62ad3f, v19
	v_mul_f32_e32 v30, 0x3f62ad3f, v28
	v_fma_f32 v20, v19, s8, -v20
	v_fmac_f32_e32 v33, 0x3f116cb1, v19
	v_mul_f32_e32 v34, 0x3f116cb1, v28
	v_fma_f32 v32, v19, s3, -v32
	;; [unrolled: 3-line block ×6, first 2 shown]
	v_add_f32_e32 v2, v2, v17
	v_sub_f32_e32 v17, v50, v17
	v_add_f32_e32 v29, v0, v29
	v_mov_b32_e32 v31, v30
	v_add_f32_e32 v20, v0, v20
	v_add_f32_e32 v33, v0, v33
	v_mov_b32_e32 v35, v34
	v_add_f32_e32 v32, v0, v32
	;; [unrolled: 3-line block ×6, first 2 shown]
	v_add_f32_e32 v18, v22, v16
	v_sub_f32_e32 v16, v22, v16
	v_fmac_f32_e32 v31, 0x3eedf032, v17
	v_fmac_f32_e32 v30, 0xbeedf032, v17
	;; [unrolled: 1-line block ×12, first 2 shown]
	v_add_f32_e32 v17, v21, v27
	v_sub_f32_e32 v19, v21, v27
	v_mul_f32_e32 v21, 0xbf52af12, v16
	v_mul_f32_e32 v27, 0x3f116cb1, v18
	v_add_f32_e32 v31, v1, v31
	v_add_f32_e32 v30, v1, v30
	;; [unrolled: 1-line block ×12, first 2 shown]
	v_mov_b32_e32 v22, v21
	v_mov_b32_e32 v28, v27
	v_fma_f32 v21, v17, s3, -v21
	v_fmac_f32_e32 v27, 0xbf52af12, v19
	v_fmac_f32_e32 v22, 0x3f116cb1, v17
	v_add_f32_e32 v20, v21, v20
	v_add_f32_e32 v21, v27, v30
	v_mul_f32_e32 v27, 0xbf6f5d39, v16
	v_add_f32_e32 v22, v22, v29
	v_mov_b32_e32 v29, v27
	v_fma_f32 v27, v17, s9, -v27
	v_fmac_f32_e32 v28, 0x3f52af12, v19
	v_fmac_f32_e32 v29, 0xbeb58ec6, v17
	v_mul_f32_e32 v30, 0xbeb58ec6, v18
	v_add_f32_e32 v27, v27, v32
	v_mul_f32_e32 v32, 0xbe750f2a, v16
	v_add_f32_e32 v28, v28, v31
	v_add_f32_e32 v29, v29, v33
	v_mov_b32_e32 v31, v30
	v_fmac_f32_e32 v30, 0xbf6f5d39, v19
	v_mov_b32_e32 v33, v32
	v_fma_f32 v32, v17, s11, -v32
	v_fmac_f32_e32 v31, 0x3f6f5d39, v19
	v_add_f32_e32 v30, v30, v34
	v_fmac_f32_e32 v33, 0xbf788fa5, v17
	v_mul_f32_e32 v34, 0xbf788fa5, v18
	v_add_f32_e32 v32, v32, v36
	v_mul_f32_e32 v36, 0x3f29c268, v16
	v_add_f32_e32 v31, v31, v35
	v_add_f32_e32 v33, v33, v37
	v_mov_b32_e32 v35, v34
	v_fmac_f32_e32 v34, 0xbe750f2a, v19
	v_mov_b32_e32 v37, v36
	v_fma_f32 v36, v17, s10, -v36
	v_fmac_f32_e32 v35, 0x3e750f2a, v19
	v_add_f32_e32 v34, v34, v38
	v_fmac_f32_e32 v37, 0xbf3f9e67, v17
	v_mul_f32_e32 v38, 0xbf3f9e67, v18
	v_add_f32_e32 v36, v36, v40
	v_mul_f32_e32 v40, 0x3f7e222b, v16
	v_add_f32_e32 v35, v35, v39
	v_add_f32_e32 v37, v37, v41
	v_mov_b32_e32 v39, v38
	v_fmac_f32_e32 v38, 0x3f29c268, v19
	v_mov_b32_e32 v41, v40
	v_fma_f32 v40, v17, s2, -v40
	v_mul_f32_e32 v16, 0x3eedf032, v16
	v_fmac_f32_e32 v39, 0xbf29c268, v19
	v_add_f32_e32 v38, v38, v42
	v_fmac_f32_e32 v41, 0x3df6dbef, v17
	v_mul_f32_e32 v42, 0x3df6dbef, v18
	v_add_f32_e32 v40, v40, v44
	v_mov_b32_e32 v44, v16
	v_mul_f32_e32 v18, 0x3f62ad3f, v18
	v_add_f32_e32 v39, v39, v43
	v_add_f32_e32 v41, v41, v45
	v_mov_b32_e32 v43, v42
	v_fmac_f32_e32 v44, 0x3f62ad3f, v17
	v_mov_b32_e32 v45, v18
	v_fma_f32 v16, v17, s8, -v16
	v_add_f32_e32 v17, v12, v26
	v_sub_f32_e32 v12, v12, v26
	v_fmac_f32_e32 v43, 0xbf7e222b, v19
	v_fmac_f32_e32 v42, 0x3f7e222b, v19
	;; [unrolled: 1-line block ×4, first 2 shown]
	v_mul_f32_e32 v19, 0xbf7e222b, v12
	v_add_f32_e32 v0, v16, v0
	v_add_f32_e32 v1, v18, v1
	;; [unrolled: 1-line block ×3, first 2 shown]
	v_sub_f32_e32 v18, v23, v25
	v_mov_b32_e32 v23, v19
	v_fmac_f32_e32 v23, 0x3df6dbef, v16
	v_add_f32_e32 v22, v23, v22
	v_mul_f32_e32 v23, 0x3df6dbef, v17
	v_mov_b32_e32 v25, v23
	v_fma_f32 v19, v16, s2, -v19
	v_fmac_f32_e32 v23, 0xbf7e222b, v18
	v_add_f32_e32 v19, v19, v20
	v_add_f32_e32 v20, v23, v21
	v_mul_f32_e32 v21, 0xbe750f2a, v12
	v_mov_b32_e32 v23, v21
	v_fma_f32 v21, v16, s11, -v21
	v_fmac_f32_e32 v23, 0xbf788fa5, v16
	v_add_f32_e32 v21, v21, v27
	v_mul_f32_e32 v27, 0x3f6f5d39, v12
	v_fmac_f32_e32 v25, 0x3f7e222b, v18
	v_add_f32_e32 v23, v23, v29
	v_mul_f32_e32 v26, 0xbf788fa5, v17
	v_mov_b32_e32 v29, v27
	v_fma_f32 v27, v16, s9, -v27
	v_add_f32_e32 v25, v25, v28
	v_mov_b32_e32 v28, v26
	v_fmac_f32_e32 v26, 0xbe750f2a, v18
	v_fmac_f32_e32 v29, 0xbeb58ec6, v16
	v_add_f32_e32 v27, v27, v32
	v_mul_f32_e32 v32, 0x3eedf032, v12
	v_fmac_f32_e32 v28, 0x3e750f2a, v18
	v_add_f32_e32 v26, v26, v30
	v_add_f32_e32 v29, v29, v33
	v_mul_f32_e32 v30, 0xbeb58ec6, v17
	v_mov_b32_e32 v33, v32
	v_fma_f32 v32, v16, s8, -v32
	v_add_f32_e32 v28, v28, v31
	v_mov_b32_e32 v31, v30
	v_fmac_f32_e32 v30, 0x3f6f5d39, v18
	v_fmac_f32_e32 v33, 0x3f62ad3f, v16
	v_add_f32_e32 v32, v32, v36
	v_mul_f32_e32 v36, 0xbf52af12, v12
	v_fmac_f32_e32 v31, 0xbf6f5d39, v18
	v_add_f32_e32 v30, v30, v34
	v_add_f32_e32 v33, v33, v37
	v_mul_f32_e32 v34, 0x3f62ad3f, v17
	v_mov_b32_e32 v37, v36
	v_fma_f32 v36, v16, s3, -v36
	v_mul_f32_e32 v12, 0xbf29c268, v12
	v_add_f32_e32 v31, v31, v35
	v_mov_b32_e32 v35, v34
	v_fmac_f32_e32 v34, 0x3eedf032, v18
	v_add_f32_e32 v36, v36, v40
	v_mov_b32_e32 v40, v12
	v_fma_f32 v12, v16, s10, -v12
	v_add_f32_e32 v34, v34, v38
	v_fmac_f32_e32 v37, 0x3f116cb1, v16
	v_mul_f32_e32 v38, 0x3f116cb1, v17
	v_mul_f32_e32 v17, 0xbf3f9e67, v17
	v_add_f32_e32 v0, v12, v0
	v_add_f32_e32 v12, v13, v7
	v_sub_f32_e32 v7, v13, v7
	v_sub_f32_e32 v13, v14, v24
	v_fmac_f32_e32 v35, 0xbeedf032, v18
	v_add_f32_e32 v37, v37, v41
	v_fmac_f32_e32 v40, 0xbf3f9e67, v16
	v_mov_b32_e32 v41, v17
	v_fmac_f32_e32 v17, 0xbf29c268, v18
	v_add_f32_e32 v16, v14, v24
	v_mul_f32_e32 v14, 0xbf6f5d39, v13
	v_add_f32_e32 v35, v35, v39
	v_mov_b32_e32 v39, v38
	v_add_f32_e32 v1, v17, v1
	v_mov_b32_e32 v17, v14
	v_fmac_f32_e32 v39, 0x3f52af12, v18
	v_fmac_f32_e32 v38, 0xbf52af12, v18
	v_fmac_f32_e32 v41, 0x3f29c268, v18
	v_fmac_f32_e32 v17, 0xbeb58ec6, v12
	v_mul_f32_e32 v18, 0xbeb58ec6, v16
	v_fma_f32 v14, v12, s9, -v14
	v_add_f32_e32 v17, v17, v22
	v_mov_b32_e32 v22, v18
	v_add_f32_e32 v14, v14, v19
	v_fmac_f32_e32 v18, 0xbf6f5d39, v7
	v_mul_f32_e32 v19, 0x3f29c268, v13
	v_add_f32_e32 v18, v18, v20
	v_mov_b32_e32 v20, v19
	v_fmac_f32_e32 v20, 0xbf3f9e67, v12
	v_add_f32_e32 v20, v20, v23
	v_mul_f32_e32 v23, 0xbf3f9e67, v16
	v_mov_b32_e32 v24, v23
	v_fma_f32 v19, v12, s10, -v19
	v_fmac_f32_e32 v23, 0x3f29c268, v7
	v_fmac_f32_e32 v22, 0x3f6f5d39, v7
	v_add_f32_e32 v19, v19, v21
	v_add_f32_e32 v21, v23, v26
	v_mul_f32_e32 v23, 0x3eedf032, v13
	v_add_f32_e32 v22, v22, v25
	v_mov_b32_e32 v25, v23
	v_fma_f32 v23, v12, s8, -v23
	v_fmac_f32_e32 v25, 0x3f62ad3f, v12
	v_add_f32_e32 v23, v23, v27
	v_mul_f32_e32 v27, 0xbf7e222b, v13
	v_fmac_f32_e32 v24, 0xbf29c268, v7
	v_add_f32_e32 v25, v25, v29
	v_mul_f32_e32 v26, 0x3f62ad3f, v16
	v_mov_b32_e32 v29, v27
	v_fma_f32 v27, v12, s2, -v27
	v_add_f32_e32 v24, v24, v28
	v_mov_b32_e32 v28, v26
	v_fmac_f32_e32 v26, 0x3eedf032, v7
	v_fmac_f32_e32 v29, 0x3df6dbef, v12
	v_add_f32_e32 v27, v27, v32
	v_mul_f32_e32 v32, 0x3e750f2a, v13
	v_fmac_f32_e32 v28, 0xbeedf032, v7
	v_add_f32_e32 v26, v26, v30
	v_add_f32_e32 v29, v29, v33
	v_mul_f32_e32 v30, 0x3df6dbef, v16
	v_mov_b32_e32 v33, v32
	v_fma_f32 v32, v12, s11, -v32
	v_mul_f32_e32 v13, 0x3f52af12, v13
	v_add_f32_e32 v28, v28, v31
	v_mov_b32_e32 v31, v30
	v_fmac_f32_e32 v30, 0xbf7e222b, v7
	v_add_f32_e32 v32, v32, v36
	v_mov_b32_e32 v36, v13
	v_fmac_f32_e32 v31, 0x3f7e222b, v7
	v_add_f32_e32 v30, v30, v34
	v_fmac_f32_e32 v33, 0xbf788fa5, v12
	v_mul_f32_e32 v34, 0xbf788fa5, v16
	v_fmac_f32_e32 v36, 0x3f116cb1, v12
	v_mul_f32_e32 v16, 0x3f116cb1, v16
	v_fma_f32 v12, v12, s3, -v13
	v_add_f32_e32 v31, v31, v35
	v_add_f32_e32 v33, v33, v37
	v_mov_b32_e32 v35, v34
	v_mov_b32_e32 v37, v16
	v_add_f32_e32 v0, v12, v0
	v_add_f32_e32 v12, v8, v6
	v_sub_f32_e32 v6, v8, v6
	v_fmac_f32_e32 v35, 0xbe750f2a, v7
	v_fmac_f32_e32 v34, 0x3e750f2a, v7
	;; [unrolled: 1-line block ×4, first 2 shown]
	v_add_f32_e32 v7, v15, v5
	v_sub_f32_e32 v5, v15, v5
	v_mul_f32_e32 v8, 0xbf29c268, v6
	v_mul_f32_e32 v15, 0xbf3f9e67, v12
	v_add_f32_e32 v1, v16, v1
	v_mov_b32_e32 v13, v8
	v_mov_b32_e32 v16, v15
	v_fma_f32 v8, v7, s10, -v8
	v_fmac_f32_e32 v15, 0xbf29c268, v5
	v_fmac_f32_e32 v13, 0xbf3f9e67, v7
	v_add_f32_e32 v8, v8, v14
	v_add_f32_e32 v14, v15, v18
	v_mul_f32_e32 v15, 0x3f7e222b, v6
	v_add_f32_e32 v13, v13, v17
	v_mov_b32_e32 v17, v15
	v_fmac_f32_e32 v17, 0x3df6dbef, v7
	v_mul_f32_e32 v18, 0x3df6dbef, v12
	v_fma_f32 v15, v7, s2, -v15
	v_add_f32_e32 v17, v17, v20
	v_mov_b32_e32 v20, v18
	v_add_f32_e32 v15, v15, v19
	v_fmac_f32_e32 v18, 0x3f7e222b, v5
	v_mul_f32_e32 v19, 0xbf52af12, v6
	v_fmac_f32_e32 v16, 0x3f29c268, v5
	v_add_f32_e32 v18, v18, v21
	v_mov_b32_e32 v21, v19
	v_fma_f32 v19, v7, s3, -v19
	v_add_f32_e32 v16, v16, v22
	v_fmac_f32_e32 v20, 0xbf7e222b, v5
	v_fmac_f32_e32 v21, 0x3f116cb1, v7
	v_mul_f32_e32 v22, 0x3f116cb1, v12
	v_add_f32_e32 v19, v19, v23
	v_mul_f32_e32 v23, 0x3e750f2a, v6
	v_add_f32_e32 v20, v20, v24
	v_add_f32_e32 v21, v21, v25
	v_mov_b32_e32 v24, v22
	v_fmac_f32_e32 v22, 0xbf52af12, v5
	v_mov_b32_e32 v25, v23
	v_fma_f32 v23, v7, s11, -v23
	v_fmac_f32_e32 v24, 0x3f52af12, v5
	v_add_f32_e32 v22, v22, v26
	v_fmac_f32_e32 v25, 0xbf788fa5, v7
	v_mul_f32_e32 v26, 0xbf788fa5, v12
	v_add_f32_e32 v23, v23, v27
	v_mul_f32_e32 v27, 0x3eedf032, v6
	v_add_f32_e32 v24, v24, v28
	v_add_f32_e32 v25, v25, v29
	v_mov_b32_e32 v28, v26
	v_fmac_f32_e32 v26, 0x3e750f2a, v5
	v_mov_b32_e32 v29, v27
	v_add_f32_e32 v45, v45, v49
	v_add_f32_e32 v26, v26, v30
	v_fmac_f32_e32 v29, 0x3f62ad3f, v7
	v_mul_f32_e32 v30, 0x3f62ad3f, v12
	v_mul_f32_e32 v12, 0xbeb58ec6, v12
	v_add_f32_e32 v43, v43, v47
	v_add_f32_e32 v41, v41, v45
	;; [unrolled: 1-line block ×3, first 2 shown]
	v_mov_b32_e32 v33, v12
	v_add_f32_e32 v42, v42, v46
	v_add_f32_e32 v44, v44, v48
	v_add_f32_e32 v39, v39, v43
	v_add_f32_e32 v37, v37, v41
	v_fmac_f32_e32 v28, 0xbe750f2a, v5
	v_fma_f32 v27, v7, s8, -v27
	v_mul_f32_e32 v6, 0xbf6f5d39, v6
	v_fmac_f32_e32 v33, 0x3f6f5d39, v5
	v_add_f32_e32 v38, v38, v42
	v_add_f32_e32 v40, v40, v44
	;; [unrolled: 1-line block ×4, first 2 shown]
	v_mov_b32_e32 v31, v30
	v_add_f32_e32 v27, v27, v32
	v_mov_b32_e32 v32, v6
	v_add_f32_e32 v33, v33, v37
	v_add_f32_e32 v37, v10, v4
	v_sub_f32_e32 v39, v10, v4
	v_add_f32_e32 v34, v34, v38
	v_add_f32_e32 v36, v36, v40
	v_fmac_f32_e32 v31, 0xbeedf032, v5
	v_fmac_f32_e32 v30, 0x3eedf032, v5
	;; [unrolled: 1-line block ×3, first 2 shown]
	v_fma_f32 v6, v7, s9, -v6
	v_fmac_f32_e32 v12, 0xbf6f5d39, v5
	v_mul_f32_e32 v4, 0xbe750f2a, v39
	v_mul_f32_e32 v5, 0xbf788fa5, v37
	v_add_f32_e32 v31, v31, v35
	v_add_f32_e32 v30, v30, v34
	;; [unrolled: 1-line block ×6, first 2 shown]
	v_sub_f32_e32 v38, v9, v11
	v_mov_b32_e32 v0, v4
	v_mov_b32_e32 v1, v5
	v_fmac_f32_e32 v0, 0xbf788fa5, v36
	v_fmac_f32_e32 v1, 0x3e750f2a, v38
	v_fma_f32 v4, v36, s11, -v4
	v_add_f32_e32 v0, v0, v13
	v_add_f32_e32 v1, v1, v16
	;; [unrolled: 1-line block ×3, first 2 shown]
	v_fmac_f32_e32 v5, 0xbe750f2a, v38
	v_mul_f32_e32 v8, 0x3eedf032, v39
	v_mul_f32_e32 v9, 0x3f62ad3f, v37
	;; [unrolled: 1-line block ×5, first 2 shown]
	v_add_f32_e32 v5, v5, v14
	v_mov_b32_e32 v6, v8
	v_mov_b32_e32 v7, v9
	;; [unrolled: 1-line block ×5, first 2 shown]
	v_fmac_f32_e32 v6, 0x3f62ad3f, v36
	v_fmac_f32_e32 v7, 0xbeedf032, v38
	;; [unrolled: 1-line block ×5, first 2 shown]
	v_add_f32_e32 v6, v6, v17
	v_add_f32_e32 v7, v7, v20
	v_fma_f32 v8, v36, s8, -v8
	v_fmac_f32_e32 v9, 0x3eedf032, v38
	v_add_f32_e32 v10, v10, v21
	v_add_f32_e32 v11, v11, v24
	v_fma_f32 v12, v36, s10, -v12
	v_fmac_f32_e32 v13, 0xbf29c268, v38
	v_add_f32_e32 v14, v14, v25
	v_mul_f32_e32 v17, 0x3f116cb1, v37
	v_fma_f32 v16, v36, s3, -v16
	v_mul_f32_e32 v20, 0xbf6f5d39, v39
	v_mul_f32_e32 v21, 0xbeb58ec6, v37
	;; [unrolled: 1-line block ×4, first 2 shown]
	v_add_f32_e32 v8, v8, v15
	v_add_f32_e32 v9, v9, v18
	;; [unrolled: 1-line block ×4, first 2 shown]
	v_mov_b32_e32 v15, v17
	v_add_f32_e32 v16, v16, v23
	v_mov_b32_e32 v18, v20
	v_mov_b32_e32 v19, v21
	;; [unrolled: 1-line block ×4, first 2 shown]
	v_fmac_f32_e32 v15, 0xbf52af12, v38
	v_fmac_f32_e32 v17, 0x3f52af12, v38
	;; [unrolled: 1-line block ×4, first 2 shown]
	v_fma_f32 v20, v36, s9, -v20
	v_fmac_f32_e32 v21, 0xbf6f5d39, v38
	v_fmac_f32_e32 v22, 0x3df6dbef, v36
	;; [unrolled: 1-line block ×3, first 2 shown]
	v_fma_f32 v24, v36, s2, -v24
	v_fmac_f32_e32 v25, 0x3f7e222b, v38
	v_add_f32_e32 v15, v15, v28
	v_add_f32_e32 v17, v17, v26
	;; [unrolled: 1-line block ×10, first 2 shown]
	ds_write_b64 v89, v[2:3]
	ds_write2_b64 v89, v[0:1], v[6:7] offset0:34 offset1:68
	ds_write2_b64 v89, v[10:11], v[14:15] offset0:102 offset1:136
	;; [unrolled: 1-line block ×3, first 2 shown]
	v_add_u32_e32 v1, 0x400, v89
	v_add_u32_e32 v0, 0x800, v89
	ds_write2_b64 v1, v[24:25], v[20:21] offset0:110 offset1:144
	ds_write2_b64 v0, v[16:17], v[12:13] offset0:50 offset1:84
	;; [unrolled: 1-line block ×3, first 2 shown]
	s_waitcnt lgkmcnt(0)
	s_barrier
	s_and_b64 exec, exec, s[0:1]
	s_cbranch_execz .LBB0_23
; %bb.22:
	global_load_dwordx2 v[2:3], v86, s[12:13]
	ds_read_b64 v[6:7], v89
	v_mad_u64_u32 v[4:5], s[0:1], s6, v56, 0
	v_mad_u64_u32 v[8:9], s[0:1], s4, v85, 0
	s_waitcnt lgkmcnt(0)
	v_mad_u64_u32 v[10:11], s[2:3], s7, v56, v[5:6]
	s_mov_b32 s0, 0x1288b013
	s_mov_b32 s1, 0x3f6288b0
	v_mad_u64_u32 v[11:12], s[2:3], s5, v85, v[9:10]
	v_mov_b32_e32 v13, s15
	s_mul_i32 s3, s5, 0xd0
	v_mov_b32_e32 v9, v11
	v_lshlrev_b64 v[8:9], 3, v[8:9]
	s_mul_hi_u32 s6, s4, 0xd0
	s_mul_i32 s2, s4, 0xd0
	s_add_i32 s3, s6, s3
	s_waitcnt vmcnt(0)
	v_mul_f32_e32 v5, v7, v3
	v_mul_f32_e32 v3, v6, v3
	v_fmac_f32_e32 v5, v6, v2
	v_fma_f32 v6, v2, v7, -v3
	v_cvt_f64_f32_e32 v[2:3], v5
	v_cvt_f64_f32_e32 v[6:7], v6
	v_mov_b32_e32 v5, v10
	v_lshlrev_b64 v[4:5], 3, v[4:5]
	v_mul_f64 v[2:3], v[2:3], s[0:1]
	v_mul_f64 v[6:7], v[6:7], s[0:1]
	v_add_co_u32_e32 v10, vcc, s14, v4
	v_addc_co_u32_e32 v11, vcc, v13, v5, vcc
	v_cvt_f32_f64_e32 v2, v[2:3]
	v_cvt_f32_f64_e32 v3, v[6:7]
	v_add_co_u32_e32 v6, vcc, v10, v8
	v_addc_co_u32_e32 v7, vcc, v11, v9, vcc
	global_store_dwordx2 v[6:7], v[2:3], off
	global_load_dwordx2 v[8:9], v86, s[12:13] offset:208
	ds_read2_b64 v[2:5], v89 offset0:26 offset1:52
	v_add_co_u32_e32 v6, vcc, s2, v6
	s_waitcnt vmcnt(0) lgkmcnt(0)
	v_mul_f32_e32 v12, v3, v9
	v_mul_f32_e32 v9, v2, v9
	v_fmac_f32_e32 v12, v2, v8
	v_fma_f32 v8, v8, v3, -v9
	v_cvt_f64_f32_e32 v[2:3], v12
	v_cvt_f64_f32_e32 v[8:9], v8
	v_mov_b32_e32 v12, s3
	v_addc_co_u32_e32 v7, vcc, v7, v12, vcc
	v_mul_f64 v[2:3], v[2:3], s[0:1]
	v_mul_f64 v[8:9], v[8:9], s[0:1]
	v_cvt_f32_f64_e32 v2, v[2:3]
	v_cvt_f32_f64_e32 v3, v[8:9]
	global_store_dwordx2 v[6:7], v[2:3], off
	global_load_dwordx2 v[2:3], v86, s[12:13] offset:416
	v_add_co_u32_e32 v6, vcc, s2, v6
	s_waitcnt vmcnt(0)
	v_mul_f32_e32 v8, v5, v3
	v_mul_f32_e32 v3, v4, v3
	v_fmac_f32_e32 v8, v4, v2
	v_fma_f32 v4, v2, v5, -v3
	v_cvt_f64_f32_e32 v[2:3], v8
	v_cvt_f64_f32_e32 v[4:5], v4
	v_mov_b32_e32 v8, s3
	v_addc_co_u32_e32 v7, vcc, v7, v8, vcc
	v_mul_f64 v[2:3], v[2:3], s[0:1]
	v_mul_f64 v[4:5], v[4:5], s[0:1]
	v_cvt_f32_f64_e32 v2, v[2:3]
	v_cvt_f32_f64_e32 v3, v[4:5]
	global_store_dwordx2 v[6:7], v[2:3], off
	global_load_dwordx2 v[8:9], v86, s[12:13] offset:624
	ds_read2_b64 v[2:5], v89 offset0:78 offset1:104
	v_add_co_u32_e32 v6, vcc, s2, v6
	s_waitcnt vmcnt(0) lgkmcnt(0)
	v_mul_f32_e32 v12, v3, v9
	v_mul_f32_e32 v9, v2, v9
	v_fmac_f32_e32 v12, v2, v8
	v_fma_f32 v8, v8, v3, -v9
	v_cvt_f64_f32_e32 v[2:3], v12
	v_cvt_f64_f32_e32 v[8:9], v8
	v_mov_b32_e32 v12, s3
	v_addc_co_u32_e32 v7, vcc, v7, v12, vcc
	v_mul_f64 v[2:3], v[2:3], s[0:1]
	v_mul_f64 v[8:9], v[8:9], s[0:1]
	v_cvt_f32_f64_e32 v2, v[2:3]
	v_cvt_f32_f64_e32 v3, v[8:9]
	global_store_dwordx2 v[6:7], v[2:3], off
	global_load_dwordx2 v[2:3], v86, s[12:13] offset:832
	v_add_co_u32_e32 v6, vcc, s2, v6
	s_waitcnt vmcnt(0)
	v_mul_f32_e32 v8, v5, v3
	v_mul_f32_e32 v3, v4, v3
	v_fmac_f32_e32 v8, v4, v2
	v_fma_f32 v4, v2, v5, -v3
	v_cvt_f64_f32_e32 v[2:3], v8
	v_cvt_f64_f32_e32 v[4:5], v4
	v_mov_b32_e32 v8, s3
	v_addc_co_u32_e32 v7, vcc, v7, v8, vcc
	v_mul_f64 v[2:3], v[2:3], s[0:1]
	v_mul_f64 v[4:5], v[4:5], s[0:1]
	v_cvt_f32_f64_e32 v2, v[2:3]
	v_cvt_f32_f64_e32 v3, v[4:5]
	;; [unrolled: 33-line block ×3, first 2 shown]
	global_store_dwordx2 v[6:7], v[2:3], off
	global_load_dwordx2 v[8:9], v86, s[12:13] offset:1456
	ds_read2_b64 v[2:5], v89 offset0:182 offset1:208
	v_add_co_u32_e32 v6, vcc, s2, v6
	s_waitcnt vmcnt(0) lgkmcnt(0)
	v_mul_f32_e32 v12, v3, v9
	v_mul_f32_e32 v9, v2, v9
	v_fmac_f32_e32 v12, v2, v8
	v_fma_f32 v8, v8, v3, -v9
	v_cvt_f64_f32_e32 v[2:3], v12
	v_cvt_f64_f32_e32 v[8:9], v8
	v_mov_b32_e32 v12, s3
	v_addc_co_u32_e32 v7, vcc, v7, v12, vcc
	v_mul_f64 v[2:3], v[2:3], s[0:1]
	v_mul_f64 v[8:9], v[8:9], s[0:1]
	v_cvt_f32_f64_e32 v2, v[2:3]
	v_cvt_f32_f64_e32 v3, v[8:9]
	global_store_dwordx2 v[6:7], v[2:3], off
	global_load_dwordx2 v[2:3], v86, s[12:13] offset:1664
	s_waitcnt vmcnt(0)
	v_mul_f32_e32 v8, v5, v3
	v_mul_f32_e32 v3, v4, v3
	v_fmac_f32_e32 v8, v4, v2
	v_fma_f32 v4, v2, v5, -v3
	v_cvt_f64_f32_e32 v[2:3], v8
	v_cvt_f64_f32_e32 v[4:5], v4
	v_mov_b32_e32 v8, s3
	v_mul_f64 v[2:3], v[2:3], s[0:1]
	v_mul_f64 v[4:5], v[4:5], s[0:1]
	v_cvt_f32_f64_e32 v2, v[2:3]
	v_cvt_f32_f64_e32 v3, v[4:5]
	v_add_co_u32_e32 v5, vcc, s2, v6
	v_addc_co_u32_e32 v6, vcc, v7, v8, vcc
	global_store_dwordx2 v[5:6], v[2:3], off
	global_load_dwordx2 v[7:8], v86, s[12:13] offset:1872
	ds_read2_b64 v[1:4], v1 offset0:106 offset1:132
	v_add_co_u32_e32 v5, vcc, s2, v5
	s_waitcnt vmcnt(0) lgkmcnt(0)
	v_mul_f32_e32 v9, v2, v8
	v_mul_f32_e32 v8, v1, v8
	v_fmac_f32_e32 v9, v1, v7
	v_fma_f32 v7, v7, v2, -v8
	v_cvt_f64_f32_e32 v[1:2], v9
	v_cvt_f64_f32_e32 v[7:8], v7
	v_mov_b32_e32 v9, s3
	v_addc_co_u32_e32 v6, vcc, v6, v9, vcc
	v_mul_f64 v[1:2], v[1:2], s[0:1]
	v_mul_f64 v[7:8], v[7:8], s[0:1]
	v_cvt_f32_f64_e32 v1, v[1:2]
	v_cvt_f32_f64_e32 v2, v[7:8]
	global_store_dwordx2 v[5:6], v[1:2], off
	global_load_dwordx2 v[1:2], v86, s[12:13] offset:2080
	v_add_co_u32_e32 v5, vcc, s2, v5
	s_waitcnt vmcnt(0)
	v_mul_f32_e32 v7, v4, v2
	v_mul_f32_e32 v2, v3, v2
	v_fmac_f32_e32 v7, v3, v1
	v_fma_f32 v3, v1, v4, -v2
	v_cvt_f64_f32_e32 v[1:2], v7
	v_cvt_f64_f32_e32 v[3:4], v3
	v_mov_b32_e32 v7, s3
	v_addc_co_u32_e32 v6, vcc, v6, v7, vcc
	v_mul_f64 v[1:2], v[1:2], s[0:1]
	v_mul_f64 v[3:4], v[3:4], s[0:1]
	v_cvt_f32_f64_e32 v1, v[1:2]
	v_cvt_f32_f64_e32 v2, v[3:4]
	global_store_dwordx2 v[5:6], v[1:2], off
	global_load_dwordx2 v[7:8], v86, s[12:13] offset:2288
	ds_read2_b64 v[1:4], v0 offset0:30 offset1:56
	v_add_co_u32_e32 v5, vcc, s2, v5
	s_waitcnt vmcnt(0) lgkmcnt(0)
	v_mul_f32_e32 v9, v2, v8
	v_mul_f32_e32 v8, v1, v8
	v_fmac_f32_e32 v9, v1, v7
	v_fma_f32 v7, v7, v2, -v8
	v_cvt_f64_f32_e32 v[1:2], v9
	v_cvt_f64_f32_e32 v[7:8], v7
	v_mov_b32_e32 v9, s3
	v_addc_co_u32_e32 v6, vcc, v6, v9, vcc
	v_mul_f64 v[1:2], v[1:2], s[0:1]
	v_mul_f64 v[7:8], v[7:8], s[0:1]
	v_cvt_f32_f64_e32 v1, v[1:2]
	v_cvt_f32_f64_e32 v2, v[7:8]
	global_store_dwordx2 v[5:6], v[1:2], off
	global_load_dwordx2 v[1:2], v86, s[12:13] offset:2496
	v_add_co_u32_e32 v5, vcc, s2, v5
	s_waitcnt vmcnt(0)
	v_mul_f32_e32 v7, v4, v2
	v_mul_f32_e32 v2, v3, v2
	v_fmac_f32_e32 v7, v3, v1
	v_fma_f32 v3, v1, v4, -v2
	v_cvt_f64_f32_e32 v[1:2], v7
	v_cvt_f64_f32_e32 v[3:4], v3
	v_mov_b32_e32 v7, s3
	v_addc_co_u32_e32 v6, vcc, v6, v7, vcc
	v_mul_f64 v[1:2], v[1:2], s[0:1]
	v_mul_f64 v[3:4], v[3:4], s[0:1]
	v_cvt_f32_f64_e32 v1, v[1:2]
	v_cvt_f32_f64_e32 v2, v[3:4]
	global_store_dwordx2 v[5:6], v[1:2], off
	global_load_dwordx2 v[7:8], v86, s[12:13] offset:2704
	ds_read2_b64 v[1:4], v0 offset0:82 offset1:108
	v_add_co_u32_e32 v5, vcc, s2, v5
	s_waitcnt vmcnt(0) lgkmcnt(0)
	v_mul_f32_e32 v9, v2, v8
	v_mul_f32_e32 v8, v1, v8
	v_fmac_f32_e32 v9, v1, v7
	v_fma_f32 v7, v7, v2, -v8
	v_cvt_f64_f32_e32 v[1:2], v9
	v_cvt_f64_f32_e32 v[7:8], v7
	v_mov_b32_e32 v9, s3
	v_addc_co_u32_e32 v6, vcc, v6, v9, vcc
	v_mul_f64 v[1:2], v[1:2], s[0:1]
	v_mul_f64 v[7:8], v[7:8], s[0:1]
	v_cvt_f32_f64_e32 v1, v[1:2]
	v_cvt_f32_f64_e32 v2, v[7:8]
	global_store_dwordx2 v[5:6], v[1:2], off
	global_load_dwordx2 v[1:2], v86, s[12:13] offset:2912
	s_waitcnt vmcnt(0)
	v_mul_f32_e32 v7, v4, v2
	v_mul_f32_e32 v2, v3, v2
	v_fmac_f32_e32 v7, v3, v1
	v_fma_f32 v3, v1, v4, -v2
	v_cvt_f64_f32_e32 v[1:2], v7
	v_cvt_f64_f32_e32 v[3:4], v3
	v_mov_b32_e32 v7, s3
	v_mul_f64 v[1:2], v[1:2], s[0:1]
	v_mul_f64 v[3:4], v[3:4], s[0:1]
	v_cvt_f32_f64_e32 v1, v[1:2]
	v_cvt_f32_f64_e32 v2, v[3:4]
	v_add_co_u32_e32 v4, vcc, s2, v5
	v_addc_co_u32_e32 v5, vcc, v6, v7, vcc
	global_store_dwordx2 v[4:5], v[1:2], off
	global_load_dwordx2 v[6:7], v86, s[12:13] offset:3120
	ds_read2_b64 v[0:3], v0 offset0:134 offset1:160
	v_add_co_u32_e32 v4, vcc, s2, v4
	s_waitcnt vmcnt(0) lgkmcnt(0)
	v_mul_f32_e32 v8, v1, v7
	v_mul_f32_e32 v7, v0, v7
	v_fmac_f32_e32 v8, v0, v6
	v_fma_f32 v6, v6, v1, -v7
	v_cvt_f64_f32_e32 v[0:1], v8
	v_cvt_f64_f32_e32 v[6:7], v6
	v_mov_b32_e32 v8, s3
	v_addc_co_u32_e32 v5, vcc, v5, v8, vcc
	v_mul_f64 v[0:1], v[0:1], s[0:1]
	v_mul_f64 v[6:7], v[6:7], s[0:1]
	v_cvt_f32_f64_e32 v0, v[0:1]
	v_cvt_f32_f64_e32 v1, v[6:7]
	v_or_b32_e32 v6, 0x1a0, v85
	global_store_dwordx2 v[4:5], v[0:1], off
	global_load_dwordx2 v[0:1], v86, s[12:13] offset:3328
	v_mad_u64_u32 v[4:5], s[2:3], s4, v6, 0
	s_waitcnt vmcnt(0)
	v_mul_f32_e32 v7, v3, v1
	v_mul_f32_e32 v1, v2, v1
	v_fmac_f32_e32 v7, v2, v0
	v_fma_f32 v2, v0, v3, -v1
	v_cvt_f64_f32_e32 v[0:1], v7
	v_cvt_f64_f32_e32 v[2:3], v2
	v_mul_f64 v[0:1], v[0:1], s[0:1]
	v_mul_f64 v[2:3], v[2:3], s[0:1]
	v_mad_u64_u32 v[5:6], s[0:1], s5, v6, v[5:6]
	v_lshlrev_b64 v[4:5], 3, v[4:5]
	v_cvt_f32_f64_e32 v0, v[0:1]
	v_cvt_f32_f64_e32 v1, v[2:3]
	v_add_co_u32_e32 v2, vcc, v10, v4
	v_addc_co_u32_e32 v3, vcc, v11, v5, vcc
	global_store_dwordx2 v[2:3], v[0:1], off
.LBB0_23:
	s_endpgm
	.section	.rodata,"a",@progbits
	.p2align	6, 0x0
	.amdhsa_kernel bluestein_single_back_len442_dim1_sp_op_CI_CI
		.amdhsa_group_segment_fixed_size 24752
		.amdhsa_private_segment_fixed_size 0
		.amdhsa_kernarg_size 104
		.amdhsa_user_sgpr_count 6
		.amdhsa_user_sgpr_private_segment_buffer 1
		.amdhsa_user_sgpr_dispatch_ptr 0
		.amdhsa_user_sgpr_queue_ptr 0
		.amdhsa_user_sgpr_kernarg_segment_ptr 1
		.amdhsa_user_sgpr_dispatch_id 0
		.amdhsa_user_sgpr_flat_scratch_init 0
		.amdhsa_user_sgpr_private_segment_size 0
		.amdhsa_uses_dynamic_stack 0
		.amdhsa_system_sgpr_private_segment_wavefront_offset 0
		.amdhsa_system_sgpr_workgroup_id_x 1
		.amdhsa_system_sgpr_workgroup_id_y 0
		.amdhsa_system_sgpr_workgroup_id_z 0
		.amdhsa_system_sgpr_workgroup_info 0
		.amdhsa_system_vgpr_workitem_id 0
		.amdhsa_next_free_vgpr 256
		.amdhsa_next_free_sgpr 22
		.amdhsa_reserve_vcc 1
		.amdhsa_reserve_flat_scratch 0
		.amdhsa_float_round_mode_32 0
		.amdhsa_float_round_mode_16_64 0
		.amdhsa_float_denorm_mode_32 3
		.amdhsa_float_denorm_mode_16_64 3
		.amdhsa_dx10_clamp 1
		.amdhsa_ieee_mode 1
		.amdhsa_fp16_overflow 0
		.amdhsa_exception_fp_ieee_invalid_op 0
		.amdhsa_exception_fp_denorm_src 0
		.amdhsa_exception_fp_ieee_div_zero 0
		.amdhsa_exception_fp_ieee_overflow 0
		.amdhsa_exception_fp_ieee_underflow 0
		.amdhsa_exception_fp_ieee_inexact 0
		.amdhsa_exception_int_div_zero 0
	.end_amdhsa_kernel
	.text
.Lfunc_end0:
	.size	bluestein_single_back_len442_dim1_sp_op_CI_CI, .Lfunc_end0-bluestein_single_back_len442_dim1_sp_op_CI_CI
                                        ; -- End function
	.section	.AMDGPU.csdata,"",@progbits
; Kernel info:
; codeLenInByte = 22024
; NumSgprs: 26
; NumVgprs: 256
; ScratchSize: 0
; MemoryBound: 0
; FloatMode: 240
; IeeeMode: 1
; LDSByteSize: 24752 bytes/workgroup (compile time only)
; SGPRBlocks: 3
; VGPRBlocks: 63
; NumSGPRsForWavesPerEU: 26
; NumVGPRsForWavesPerEU: 256
; Occupancy: 1
; WaveLimiterHint : 1
; COMPUTE_PGM_RSRC2:SCRATCH_EN: 0
; COMPUTE_PGM_RSRC2:USER_SGPR: 6
; COMPUTE_PGM_RSRC2:TRAP_HANDLER: 0
; COMPUTE_PGM_RSRC2:TGID_X_EN: 1
; COMPUTE_PGM_RSRC2:TGID_Y_EN: 0
; COMPUTE_PGM_RSRC2:TGID_Z_EN: 0
; COMPUTE_PGM_RSRC2:TIDIG_COMP_CNT: 0
	.type	__hip_cuid_4f1e8b76b730c290,@object ; @__hip_cuid_4f1e8b76b730c290
	.section	.bss,"aw",@nobits
	.globl	__hip_cuid_4f1e8b76b730c290
__hip_cuid_4f1e8b76b730c290:
	.byte	0                               ; 0x0
	.size	__hip_cuid_4f1e8b76b730c290, 1

	.ident	"AMD clang version 19.0.0git (https://github.com/RadeonOpenCompute/llvm-project roc-6.4.0 25133 c7fe45cf4b819c5991fe208aaa96edf142730f1d)"
	.section	".note.GNU-stack","",@progbits
	.addrsig
	.addrsig_sym __hip_cuid_4f1e8b76b730c290
	.amdgpu_metadata
---
amdhsa.kernels:
  - .args:
      - .actual_access:  read_only
        .address_space:  global
        .offset:         0
        .size:           8
        .value_kind:     global_buffer
      - .actual_access:  read_only
        .address_space:  global
        .offset:         8
        .size:           8
        .value_kind:     global_buffer
      - .actual_access:  read_only
        .address_space:  global
        .offset:         16
        .size:           8
        .value_kind:     global_buffer
      - .actual_access:  read_only
        .address_space:  global
        .offset:         24
        .size:           8
        .value_kind:     global_buffer
      - .actual_access:  read_only
        .address_space:  global
        .offset:         32
        .size:           8
        .value_kind:     global_buffer
      - .offset:         40
        .size:           8
        .value_kind:     by_value
      - .address_space:  global
        .offset:         48
        .size:           8
        .value_kind:     global_buffer
      - .address_space:  global
        .offset:         56
        .size:           8
        .value_kind:     global_buffer
      - .address_space:  global
        .offset:         64
        .size:           8
        .value_kind:     global_buffer
      - .address_space:  global
        .offset:         72
        .size:           8
        .value_kind:     global_buffer
      - .offset:         80
        .size:           4
        .value_kind:     by_value
      - .address_space:  global
        .offset:         88
        .size:           8
        .value_kind:     global_buffer
      - .address_space:  global
        .offset:         96
        .size:           8
        .value_kind:     global_buffer
    .group_segment_fixed_size: 24752
    .kernarg_segment_align: 8
    .kernarg_segment_size: 104
    .language:       OpenCL C
    .language_version:
      - 2
      - 0
    .max_flat_workgroup_size: 238
    .name:           bluestein_single_back_len442_dim1_sp_op_CI_CI
    .private_segment_fixed_size: 0
    .sgpr_count:     26
    .sgpr_spill_count: 0
    .symbol:         bluestein_single_back_len442_dim1_sp_op_CI_CI.kd
    .uniform_work_group_size: 1
    .uses_dynamic_stack: false
    .vgpr_count:     256
    .vgpr_spill_count: 0
    .wavefront_size: 64
amdhsa.target:   amdgcn-amd-amdhsa--gfx906
amdhsa.version:
  - 1
  - 2
...

	.end_amdgpu_metadata
